;; amdgpu-corpus repo=ROCm/rocFFT kind=compiled arch=gfx950 opt=O3
	.text
	.amdgcn_target "amdgcn-amd-amdhsa--gfx950"
	.amdhsa_code_object_version 6
	.protected	bluestein_single_fwd_len3072_dim1_sp_op_CI_CI ; -- Begin function bluestein_single_fwd_len3072_dim1_sp_op_CI_CI
	.globl	bluestein_single_fwd_len3072_dim1_sp_op_CI_CI
	.p2align	8
	.type	bluestein_single_fwd_len3072_dim1_sp_op_CI_CI,@function
bluestein_single_fwd_len3072_dim1_sp_op_CI_CI: ; @bluestein_single_fwd_len3072_dim1_sp_op_CI_CI
; %bb.0:
	s_load_dwordx4 s[16:19], s[0:1], 0x28
	s_mov_b32 s3, 0
	s_waitcnt lgkmcnt(0)
	v_mov_b32_e32 v2, s16
	v_mov_b32_e32 v3, s17
	v_cmp_lt_u64_e32 vcc, s[2:3], v[2:3]
	s_and_saveexec_b64 s[4:5], vcc
	s_cbranch_execz .LBB0_2
; %bb.1:
	s_load_dwordx4 s[4:7], s[0:1], 0x18
	s_load_dwordx4 s[8:11], s[0:1], 0x0
	v_mov_b64_e32 v[68:69], s[2:3]
	v_mov_b32_e32 v2, s18
	v_mov_b32_e32 v3, s19
	s_waitcnt lgkmcnt(0)
	s_load_dwordx4 s[12:15], s[4:5], 0x0
	s_add_u32 s2, s8, 0x6000
	s_addc_u32 s3, s9, 0
	v_or_b32_e32 v26, 0x200, v0
	v_lshlrev_b32_e32 v69, 3, v26
	s_waitcnt lgkmcnt(0)
	v_mad_u64_u32 v[4:5], s[4:5], s14, v68, 0
	v_mov_b32_e32 v6, v5
	v_mad_u64_u32 v[6:7], s[4:5], s15, v68, v[6:7]
	v_mov_b32_e32 v5, v6
	v_mad_u64_u32 v[6:7], s[4:5], s12, v0, 0
	v_mov_b32_e32 v8, v7
	v_mad_u64_u32 v[8:9], s[4:5], s13, v0, v[8:9]
	v_mov_b32_e32 v7, v8
	v_lshl_add_u64 v[2:3], v[4:5], 3, v[2:3]
	v_lshl_add_u64 v[2:3], v[6:7], 3, v[2:3]
	s_lshl_b64 s[4:5], s[12:13], 12
	v_lshl_add_u64 v[4:5], v[2:3], 0, s[4:5]
	v_lshlrev_b32_e32 v50, 3, v0
	global_load_dwordx2 v[6:7], v[2:3], off
	global_load_dwordx2 v[8:9], v[4:5], off
	global_load_dwordx2 v[74:75], v69, s[8:9]
	global_load_dwordx2 v[76:77], v50, s[8:9]
	v_lshl_add_u64 v[2:3], v[4:5], 0, s[4:5]
	global_load_dwordx2 v[4:5], v[2:3], off
	v_or_b32_e32 v89, 0x2000, v50
	v_lshl_add_u64 v[2:3], v[2:3], 0, s[4:5]
	global_load_dwordx2 v[72:73], v89, s[8:9]
	global_load_dwordx2 v[10:11], v[2:3], off
	v_or_b32_e32 v91, 0x3000, v50
	global_load_dwordx2 v[70:71], v91, s[8:9]
	v_lshl_add_u64 v[2:3], v[2:3], 0, s[4:5]
	global_load_dwordx2 v[12:13], v[2:3], off
	v_or_b32_e32 v95, 0x4000, v50
	global_load_dwordx2 v[66:67], v95, s[8:9]
	v_lshl_add_u64 v[2:3], v[2:3], 0, s[4:5]
	v_mov_b32_e32 v1, 0xffffb800
	s_mulk_i32 s13, 0xb800
	global_load_dwordx2 v[14:15], v[2:3], off
	v_or_b32_e32 v99, 0x5000, v50
	global_load_dwordx2 v[62:63], v99, s[8:9]
	v_mad_u64_u32 v[2:3], s[14:15], s12, v1, v[2:3]
	s_sub_i32 s12, s13, s12
	v_add_u32_e32 v3, s12, v3
	global_load_dwordx2 v[16:17], v[2:3], off
	global_load_dwordx2 v[64:65], v50, s[8:9] offset:2048
	v_lshl_add_u64 v[2:3], v[2:3], 0, s[4:5]
	v_or_b32_e32 v105, 0x1800, v50
	global_load_dwordx2 v[18:19], v[2:3], off
	global_load_dwordx2 v[60:61], v105, s[8:9]
	v_lshl_add_u64 v[2:3], v[2:3], 0, s[4:5]
	v_or_b32_e32 v111, 0x2800, v50
	global_load_dwordx2 v[20:21], v[2:3], off
	global_load_dwordx2 v[58:59], v111, s[8:9]
	v_lshl_add_u64 v[2:3], v[2:3], 0, s[4:5]
	v_or_b32_e32 v117, 0x3800, v50
	global_load_dwordx2 v[56:57], v117, s[8:9]
	global_load_dwordx2 v[22:23], v[2:3], off
	v_lshl_add_u64 v[2:3], v[2:3], 0, s[4:5]
	v_or_b32_e32 v109, 0x4800, v50
	global_load_dwordx2 v[24:25], v[2:3], off
	global_load_dwordx2 v[54:55], v109, s[8:9]
	v_or_b32_e32 v119, 0x5800, v50
	v_lshl_add_u64 v[2:3], v[2:3], 0, s[4:5]
	global_load_dwordx2 v[52:53], v119, s[8:9]
	global_load_dwordx2 v[28:29], v[2:3], off
	s_load_dwordx4 s[4:7], s[6:7], 0x0
	s_mov_b32 s12, 0x3f5db3d7
	s_mov_b32 s13, 0xbf5db3d7
	s_mov_b32 s14, 0.5
	s_mov_b32 s15, s12
	s_mov_b32 s8, s12
	;; [unrolled: 1-line block ×3, first 2 shown]
	v_or_b32_e32 v126, 0x100, v0
	v_mul_u32_u24_e32 v27, 0x2aab, v126
	v_mul_u32_u24_e32 v100, 0x2aab, v26
	v_mov_b32_e32 v51, 0
	v_mul_lo_u16_e32 v108, 0xab, v0
	v_lshrrev_b16_e32 v106, 10, v108
	v_mov_b32_e32 v116, 3
	v_mul_u32_u24_e32 v114, 0xaab, v26
	v_lshrrev_b16_e32 v122, 12, v108
	v_lshrrev_b16_e32 v154, 14, v108
	s_movk_i32 s18, 0x1000
	s_load_dwordx2 s[0:1], s[0:1], 0x38
	s_waitcnt vmcnt(20)
	v_mul_f32_e32 v2, v7, v77
	v_mul_f32_e32 v3, v6, v77
	v_fmac_f32_e32 v2, v6, v76
	v_fma_f32 v3, v7, v76, -v3
	v_mul_f32_e32 v6, v9, v75
	v_mul_f32_e32 v7, v8, v75
	v_fmac_f32_e32 v6, v8, v74
	v_fma_f32 v7, v9, v74, -v7
	s_waitcnt vmcnt(18)
	v_mul_f32_e32 v8, v5, v73
	v_mul_f32_e32 v9, v4, v73
	v_fmac_f32_e32 v8, v4, v72
	v_fma_f32 v9, v5, v72, -v9
	s_waitcnt vmcnt(16)
	;; [unrolled: 5-line block ×5, first 2 shown]
	v_mul_f32_e32 v14, v17, v65
	v_mul_f32_e32 v15, v16, v65
	v_fmac_f32_e32 v14, v16, v64
	v_fma_f32 v15, v17, v64, -v15
	ds_write2st64_b64 v50, v[2:3], v[14:15] offset1:4
	s_waitcnt vmcnt(8)
	v_mul_f32_e32 v2, v18, v61
	v_fma_f32 v17, v19, v60, -v2
	s_waitcnt vmcnt(6)
	v_mul_f32_e32 v2, v21, v59
	v_mul_f32_e32 v3, v20, v59
	v_fmac_f32_e32 v2, v20, v58
	v_fma_f32 v3, v21, v58, -v3
	ds_write2st64_b64 v50, v[8:9], v[2:3] offset0:16 offset1:20
	s_waitcnt vmcnt(4)
	v_mul_f32_e32 v2, v23, v57
	v_mul_f32_e32 v3, v22, v57
	v_fmac_f32_e32 v2, v22, v56
	v_fma_f32 v3, v23, v56, -v3
	ds_write2st64_b64 v50, v[4:5], v[2:3] offset0:24 offset1:28
	s_waitcnt vmcnt(2)
	v_mul_f32_e32 v2, v25, v55
	v_mul_f32_e32 v3, v24, v55
	v_fmac_f32_e32 v2, v24, v54
	v_fma_f32 v3, v25, v54, -v3
	v_mul_f32_e32 v16, v19, v61
	ds_write2st64_b64 v50, v[10:11], v[2:3] offset0:32 offset1:36
	s_waitcnt vmcnt(0)
	v_mul_f32_e32 v2, v29, v53
	v_mul_f32_e32 v3, v28, v53
	v_fmac_f32_e32 v16, v18, v60
	v_fmac_f32_e32 v2, v28, v52
	v_fma_f32 v3, v29, v52, -v3
	ds_write2st64_b64 v50, v[6:7], v[16:17] offset0:8 offset1:12
	ds_write2st64_b64 v50, v[12:13], v[2:3] offset0:40 offset1:44
	s_waitcnt lgkmcnt(0)
	s_barrier
	ds_read2st64_b64 v[2:5], v50 offset0:16 offset1:20
	ds_read2st64_b64 v[6:9], v50 offset0:32 offset1:36
	ds_read2st64_b64 v[10:13], v50 offset1:4
	ds_read2st64_b64 v[14:17], v50 offset0:8 offset1:12
	ds_read2st64_b64 v[18:21], v50 offset0:24 offset1:28
	ds_read2st64_b64 v[22:25], v50 offset0:40 offset1:44
	s_waitcnt lgkmcnt(4)
	v_pk_add_f32 v[28:29], v[2:3], v[6:7]
	v_pk_add_f32 v[30:31], v[2:3], v[6:7] neg_lo:[0,1] neg_hi:[0,1]
	s_waitcnt lgkmcnt(3)
	v_pk_fma_f32 v[28:29], v[28:29], 0.5, v[10:11] op_sel_hi:[1,0,1] neg_lo:[1,0,0] neg_hi:[1,0,0]
	v_pk_mul_f32 v[30:31], v[30:31], s[12:13] op_sel_hi:[1,0]
	v_pk_add_f32 v[2:3], v[10:11], v[2:3]
	v_pk_add_f32 v[32:33], v[28:29], v[30:31] op_sel:[0,1] op_sel_hi:[1,0]
	v_pk_add_f32 v[38:39], v[28:29], v[30:31] op_sel:[0,1] op_sel_hi:[1,0] neg_lo:[0,1] neg_hi:[0,1]
	s_waitcnt lgkmcnt(0)
	v_pk_add_f32 v[28:29], v[18:19], v[22:23]
	v_pk_add_f32 v[30:31], v[18:19], v[22:23] neg_lo:[0,1] neg_hi:[0,1]
	v_pk_fma_f32 v[28:29], v[28:29], 0.5, v[14:15] op_sel_hi:[1,0,1] neg_lo:[1,0,0] neg_hi:[1,0,0]
	v_pk_add_f32 v[2:3], v[2:3], v[6:7]
	v_pk_fma_f32 v[34:35], v[30:31], s[12:13], v[28:29] op_sel:[0,0,1] op_sel_hi:[1,0,0]
	v_pk_fma_f32 v[28:29], v[30:31], s[12:13], v[28:29] op_sel:[0,0,1] op_sel_hi:[1,0,0] neg_lo:[1,0,0] neg_hi:[1,0,0]
	v_mov_b32_e32 v30, v34
	v_mov_b32_e32 v31, v29
	v_pk_mul_f32 v[36:37], v[30:31], 0.5 op_sel_hi:[1,0]
	v_pk_add_f32 v[6:7], v[14:15], v[18:19]
	v_pk_fma_f32 v[40:41], v[30:31], s[12:13], v[36:37] op_sel:[0,0,1] op_sel_hi:[1,1,0] neg_lo:[0,0,1] neg_hi:[0,0,1]
	v_pk_mul_f32 v[30:31], v[34:35], s[14:15] op_sel:[1,0]
	v_pk_add_f32 v[6:7], v[6:7], v[22:23]
	v_pk_fma_f32 v[42:43], v[28:29], s[8:9], v[30:31]
	v_pk_fma_f32 v[28:29], v[28:29], s[8:9], v[30:31] op_sel_hi:[0,1,1] neg_lo:[0,0,1] neg_hi:[0,0,1]
	v_mov_b32_e32 v43, v29
	v_pk_add_f32 v[28:29], v[2:3], v[6:7]
	v_pk_add_f32 v[34:35], v[2:3], v[6:7] neg_lo:[0,1] neg_hi:[0,1]
	v_mul_u32_u24_e32 v2, 6, v0
	v_lshlrev_b32_e32 v115, 3, v2
	v_mul_u32_u24_e32 v2, 6, v126
	v_lshlrev_b32_e32 v101, 3, v2
	v_pk_add_f32 v[2:3], v[12:13], v[4:5]
	v_mov_b32_e32 v36, v32
	v_pk_add_f32 v[10:11], v[2:3], v[8:9]
	v_pk_add_f32 v[2:3], v[16:17], v[20:21]
	v_mov_b32_e32 v37, v39
	v_pk_add_f32 v[14:15], v[2:3], v[24:25]
	v_pk_add_f32 v[2:3], v[4:5], v[8:9]
	v_pk_add_f32 v[4:5], v[4:5], v[8:9] neg_lo:[0,1] neg_hi:[0,1]
	v_pk_fma_f32 v[6:7], v[2:3], 0.5, v[12:13] op_sel_hi:[1,0,1] neg_lo:[1,0,0] neg_hi:[1,0,0]
	v_pk_mul_f32 v[4:5], v[4:5], s[12:13] op_sel_hi:[1,0]
	v_mov_b32_e32 v39, v33
	v_pk_add_f32 v[8:9], v[6:7], v[4:5] op_sel:[0,1] op_sel_hi:[1,0]
	v_pk_add_f32 v[12:13], v[6:7], v[4:5] op_sel:[0,1] op_sel_hi:[1,0] neg_lo:[0,1] neg_hi:[0,1]
	v_pk_add_f32 v[4:5], v[20:21], v[24:25]
	v_pk_add_f32 v[6:7], v[20:21], v[24:25] neg_lo:[0,1] neg_hi:[0,1]
	v_pk_fma_f32 v[4:5], v[4:5], 0.5, v[16:17] op_sel_hi:[1,0,1] neg_lo:[1,0,0] neg_hi:[1,0,0]
	v_mov_b32_e32 v18, v8
	v_pk_fma_f32 v[16:17], v[6:7], s[12:13], v[4:5] op_sel:[0,0,1] op_sel_hi:[1,0,0]
	v_pk_fma_f32 v[4:5], v[6:7], s[12:13], v[4:5] op_sel:[0,0,1] op_sel_hi:[1,0,0] neg_lo:[1,0,0] neg_hi:[1,0,0]
	v_mov_b32_e32 v6, v16
	v_mov_b32_e32 v7, v5
	v_pk_mul_f32 v[20:21], v[6:7], 0.5 op_sel_hi:[1,0]
	v_mov_b32_e32 v19, v13
	v_pk_fma_f32 v[20:21], v[6:7], s[12:13], v[20:21] op_sel:[0,0,1] op_sel_hi:[1,1,0] neg_lo:[0,0,1] neg_hi:[0,0,1]
	v_pk_mul_f32 v[6:7], v[16:17], s[14:15] op_sel:[1,0]
	v_pk_add_f32 v[30:31], v[36:37], v[42:43]
	v_pk_fma_f32 v[16:17], v[4:5], s[8:9], v[6:7]
	v_pk_fma_f32 v[4:5], v[4:5], s[8:9], v[6:7] op_sel_hi:[0,1,1] neg_lo:[0,0,1] neg_hi:[0,0,1]
	v_mov_b32_e32 v17, v5
	v_pk_add_f32 v[32:33], v[38:39], v[40:41]
	v_pk_add_f32 v[36:37], v[36:37], v[42:43] neg_lo:[0,1] neg_hi:[0,1]
	v_pk_add_f32 v[38:39], v[38:39], v[40:41] neg_lo:[0,1] neg_hi:[0,1]
	v_pk_add_f32 v[2:3], v[10:11], v[14:15]
	v_mov_b32_e32 v13, v9
	v_pk_add_f32 v[4:5], v[18:19], v[16:17]
	s_barrier
	ds_write_b128 v115, v[28:31]
	ds_write_b128 v115, v[32:35] offset:16
	ds_write_b128 v115, v[36:39] offset:32
	ds_write_b128 v101, v[2:5]
	v_pk_add_f32 v[2:3], v[18:19], v[16:17] neg_lo:[0,1] neg_hi:[0,1]
	v_pk_add_f32 v[4:5], v[12:13], v[20:21] neg_lo:[0,1] neg_hi:[0,1]
	ds_write_b128 v101, v[2:5] offset:32
	v_mov_b32_e32 v2, 6
	v_mul_lo_u16_sdwa v3, v27, v2 dst_sel:DWORD dst_unused:UNUSED_PAD src0_sel:WORD_1 src1_sel:DWORD
	v_mul_lo_u16_sdwa v2, v100, v2 dst_sel:DWORD dst_unused:UNUSED_PAD src0_sel:WORD_1 src1_sel:DWORD
	v_sub_u16_e32 v104, v26, v2
	v_sub_u16_e32 v98, v126, v3
	v_mul_lo_u16_e32 v2, 24, v104
	v_mov_b32_e32 v3, v51
	v_pk_add_f32 v[6:7], v[12:13], v[20:21]
	v_pk_add_f32 v[8:9], v[10:11], v[14:15] neg_lo:[0,1] neg_hi:[0,1]
	v_lshl_add_u64 v[10:11], s[10:11], 0, v[2:3]
	ds_write_b128 v101, v[6:9] offset:16
	s_waitcnt lgkmcnt(0)
	s_barrier
	global_load_dwordx4 v[6:9], v[10:11], off
	v_mul_lo_u16_e32 v2, 24, v98
	v_lshl_add_u64 v[12:13], s[10:11], 0, v[2:3]
	global_load_dwordx4 v[2:5], v[12:13], off
	global_load_dwordx2 v[78:79], v[10:11], off offset:16
	global_load_dwordx2 v[80:81], v[12:13], off offset:16
	v_mul_lo_u16_e32 v10, 6, v106
	v_sub_u16_e32 v10, v0, v10
	v_and_b32_e32 v107, 0xff, v10
	v_mad_u64_u32 v[14:15], s[16:17], v107, 24, s[10:11]
	global_load_dwordx4 v[10:13], v[14:15], off
	global_load_dwordx2 v[86:87], v[14:15], off offset:16
	ds_read2st64_b64 v[14:17], v50 offset0:16 offset1:20
	ds_read2st64_b64 v[18:21], v50 offset0:40 offset1:44
	s_waitcnt vmcnt(5) lgkmcnt(1)
	v_pk_mul_f32 v[22:23], v[16:17], v[6:7] op_sel_hi:[1,0]
	s_nop 0
	v_pk_fma_f32 v[24:25], v[16:17], v[6:7], v[22:23] op_sel:[0,1,1] op_sel_hi:[1,1,0]
	v_pk_fma_f32 v[28:29], v[16:17], v[6:7], v[22:23] op_sel:[0,1,1] op_sel_hi:[1,1,0] neg_lo:[1,0,0] neg_hi:[1,0,0]
	s_waitcnt vmcnt(4)
	v_pk_mul_f32 v[16:17], v[14:15], v[2:3] op_sel_hi:[1,0]
	v_mov_b32_e32 v88, v5
	v_pk_fma_f32 v[30:31], v[14:15], v[2:3], v[16:17] op_sel:[0,1,1] op_sel_hi:[1,1,0]
	v_pk_fma_f32 v[32:33], v[14:15], v[2:3], v[16:17] op_sel:[0,1,1] op_sel_hi:[1,1,0] neg_lo:[1,0,0] neg_hi:[1,0,0]
	s_waitcnt vmcnt(3) lgkmcnt(0)
	v_pk_mul_f32 v[14:15], v[20:21], v[78:79] op_sel_hi:[1,0]
	s_waitcnt vmcnt(1)
	v_mov_b32_e32 v90, v13
	v_pk_fma_f32 v[34:35], v[20:21], v[78:79], v[14:15] op_sel:[0,1,1] op_sel_hi:[1,1,0]
	v_pk_fma_f32 v[36:37], v[20:21], v[78:79], v[14:15] op_sel:[0,1,1] op_sel_hi:[1,1,0] neg_lo:[1,0,0] neg_hi:[1,0,0]
	ds_read2st64_b64 v[14:17], v50 offset0:24 offset1:28
	v_pk_mul_f32 v[20:21], v[18:19], v[80:81] op_sel_hi:[1,0]
	v_mov_b32_e32 v94, v9
	v_pk_fma_f32 v[38:39], v[18:19], v[80:81], v[20:21] op_sel:[0,1,1] op_sel_hi:[1,1,0]
	v_pk_fma_f32 v[40:41], v[18:19], v[80:81], v[20:21] op_sel:[0,1,1] op_sel_hi:[1,1,0] neg_lo:[1,0,0] neg_hi:[1,0,0]
	s_waitcnt lgkmcnt(0)
	v_pk_mul_f32 v[18:19], v[16:17], v[88:89] op_sel_hi:[1,0]
	v_pk_mul_f32 v[20:21], v[14:15], v[90:91] op_sel_hi:[1,0]
	v_pk_fma_f32 v[42:43], v[16:17], v[4:5], v[18:19] op_sel:[0,0,1] op_sel_hi:[1,1,0] neg_lo:[0,0,1] neg_hi:[0,0,1]
	v_pk_fma_f32 v[44:45], v[16:17], v[4:5], v[18:19] op_sel:[0,0,1] op_sel_hi:[1,0,0]
	ds_read2st64_b64 v[16:19], v50 offset0:32 offset1:36
	v_pk_fma_f32 v[46:47], v[14:15], v[12:13], v[20:21] op_sel:[0,0,1] op_sel_hi:[1,1,0] neg_lo:[0,0,1] neg_hi:[0,0,1]
	v_pk_fma_f32 v[48:49], v[14:15], v[12:13], v[20:21] op_sel:[0,0,1] op_sel_hi:[1,0,0]
	ds_read2st64_b64 v[20:23], v50 offset0:8 offset1:12
	v_mov_b32_e32 v47, v49
	s_waitcnt lgkmcnt(1)
	v_pk_mul_f32 v[14:15], v[16:17], v[94:95] op_sel_hi:[1,0]
	v_mov_b32_e32 v43, v45
	v_pk_fma_f32 v[82:83], v[16:17], v[8:9], v[14:15] op_sel:[0,0,1] op_sel_hi:[1,1,0] neg_lo:[0,0,1] neg_hi:[0,0,1]
	v_pk_fma_f32 v[84:85], v[16:17], v[8:9], v[14:15] op_sel:[0,0,1] op_sel_hi:[1,0,0]
	s_waitcnt vmcnt(0)
	v_pk_mul_f32 v[14:15], v[18:19], v[86:87] op_sel:[0,1]
	s_waitcnt lgkmcnt(0)
	v_pk_mul_f32 v[96:97], v[22:23], v[10:11] op_sel:[0,1]
	v_pk_fma_f32 v[92:93], v[18:19], v[86:87], v[14:15] op_sel:[0,0,1] op_sel_hi:[1,1,0] neg_lo:[0,0,1] neg_hi:[0,0,1]
	v_pk_fma_f32 v[18:19], v[18:19], v[86:87], v[14:15] op_sel:[0,0,1] op_sel_hi:[1,0,0]
	ds_read2st64_b64 v[14:17], v50 offset1:4
	v_pk_fma_f32 v[102:103], v[22:23], v[10:11], v[96:97] op_sel:[0,0,1] op_sel_hi:[1,1,0] neg_lo:[0,0,1] neg_hi:[0,0,1]
	v_pk_fma_f32 v[22:23], v[22:23], v[10:11], v[96:97] op_sel:[0,0,1] op_sel_hi:[1,0,0]
	v_mov_b32_e32 v93, v19
	v_mov_b32_e32 v103, v23
	s_waitcnt lgkmcnt(0)
	v_pk_add_f32 v[18:19], v[14:15], v[46:47] neg_lo:[0,1] neg_hi:[0,1]
	v_pk_add_f32 v[22:23], v[102:103], v[92:93] neg_lo:[0,1] neg_hi:[0,1]
	v_mul_u32_u24_e32 v9, 24, v106
	v_pk_fma_f32 v[46:47], v[102:103], 2.0, v[22:23] op_sel_hi:[1,0,1] neg_lo:[0,0,1] neg_hi:[0,0,1]
	v_pk_add_f32 v[48:49], v[18:19], v[22:23] op_sel:[0,1] op_sel_hi:[1,0] neg_lo:[0,1] neg_hi:[0,1]
	v_pk_add_f32 v[22:23], v[18:19], v[22:23] op_sel:[0,1] op_sel_hi:[1,0]
	v_pk_fma_f32 v[14:15], v[14:15], 2.0, v[18:19] op_sel_hi:[1,0,1] neg_lo:[0,0,1] neg_hi:[0,0,1]
	v_mov_b32_e32 v49, v23
	v_or_b32_e32 v9, v9, v107
	v_pk_add_f32 v[22:23], v[14:15], v[46:47] neg_lo:[0,1] neg_hi:[0,1]
	v_lshlrev_b32_e32 v9, 3, v9
	v_pk_fma_f32 v[14:15], v[14:15], 2.0, v[22:23] op_sel_hi:[1,0,1] neg_lo:[0,0,1] neg_hi:[0,0,1]
	v_pk_fma_f32 v[18:19], v[18:19], 2.0, v[48:49] op_sel_hi:[1,0,1] neg_lo:[0,0,1] neg_hi:[0,0,1]
	v_mov_b32_e32 v31, v33
	v_mov_b32_e32 v39, v41
	s_barrier
	ds_write2_b64 v9, v[14:15], v[18:19] offset1:6
	ds_write2_b64 v9, v[22:23], v[48:49] offset0:12 offset1:18
	v_pk_add_f32 v[14:15], v[16:17], v[42:43] neg_lo:[0,1] neg_hi:[0,1]
	v_pk_add_f32 v[18:19], v[30:31], v[38:39] neg_lo:[0,1] neg_hi:[0,1]
	v_mov_b32_e32 v28, 24
	v_pk_add_f32 v[22:23], v[14:15], v[18:19] neg_lo:[0,1] neg_hi:[0,1]
	v_pk_add_f32 v[32:33], v[14:15], v[18:19]
	v_pk_fma_f32 v[16:17], v[16:17], 2.0, v[14:15] op_sel_hi:[1,0,1] neg_lo:[0,0,1] neg_hi:[0,0,1]
	v_pk_fma_f32 v[18:19], v[30:31], 2.0, v[18:19] op_sel_hi:[1,0,1] neg_lo:[0,0,1] neg_hi:[0,0,1]
	v_mul_lo_u16_sdwa v25, v27, v28 dst_sel:DWORD dst_unused:UNUSED_PAD src0_sel:WORD_1 src1_sel:DWORD
	v_mov_b32_e32 v23, v33
	v_or_b32_e32 v25, v25, v98
	v_pk_add_f32 v[18:19], v[16:17], v[18:19] op_sel:[0,1] op_sel_hi:[1,0] neg_lo:[0,1] neg_hi:[0,1]
	v_lshlrev_b32_sdwa v138, v116, v25 dst_sel:DWORD dst_unused:UNUSED_PAD src0_sel:DWORD src1_sel:WORD_0
	v_pk_fma_f32 v[14:15], v[14:15], 2.0, v[22:23] op_sel_hi:[1,0,1] neg_lo:[0,0,1] neg_hi:[0,0,1]
	v_pk_fma_f32 v[16:17], v[16:17], 2.0, v[18:19] op_sel_hi:[1,0,1] neg_lo:[0,0,1] neg_hi:[0,0,1]
	v_mov_b32_e32 v83, v85
	v_mov_b32_e32 v25, v29
	;; [unrolled: 1-line block ×3, first 2 shown]
	ds_write2_b64 v138, v[16:17], v[14:15] offset1:6
	ds_write2_b64 v138, v[18:19], v[22:23] offset0:12 offset1:18
	v_pk_add_f32 v[14:15], v[20:21], v[82:83] neg_lo:[0,1] neg_hi:[0,1]
	v_pk_add_f32 v[16:17], v[24:25], v[34:35] neg_lo:[0,1] neg_hi:[0,1]
	v_pk_fma_f32 v[20:21], v[20:21], 2.0, v[14:15] op_sel_hi:[1,0,1] neg_lo:[0,0,1] neg_hi:[0,0,1]
	v_pk_add_f32 v[22:23], v[14:15], v[16:17]
	v_pk_add_f32 v[18:19], v[14:15], v[16:17] neg_lo:[0,1] neg_hi:[0,1]
	v_pk_fma_f32 v[16:17], v[24:25], 2.0, v[16:17] op_sel_hi:[1,0,1] neg_lo:[0,0,1] neg_hi:[0,0,1]
	v_mul_lo_u16_sdwa v22, v100, v28 dst_sel:DWORD dst_unused:UNUSED_PAD src0_sel:WORD_1 src1_sel:DWORD
	v_mov_b32_e32 v19, v23
	v_or_b32_e32 v22, v22, v104
	v_pk_add_f32 v[16:17], v[20:21], v[16:17] op_sel:[0,1] op_sel_hi:[1,0] neg_lo:[0,1] neg_hi:[0,1]
	v_lshlrev_b32_sdwa v123, v116, v22 dst_sel:DWORD dst_unused:UNUSED_PAD src0_sel:DWORD src1_sel:WORD_0
	v_pk_fma_f32 v[14:15], v[14:15], 2.0, v[18:19] op_sel_hi:[1,0,1] neg_lo:[0,0,1] neg_hi:[0,0,1]
	v_pk_fma_f32 v[20:21], v[20:21], 2.0, v[16:17] op_sel_hi:[1,0,1] neg_lo:[0,0,1] neg_hi:[0,0,1]
	v_mul_u32_u24_e32 v27, 0xaab, v126
	ds_write2_b64 v123, v[20:21], v[14:15] offset1:6
	ds_write2_b64 v123, v[16:17], v[18:19] offset0:12 offset1:18
	v_mul_lo_u16_sdwa v14, v27, v28 dst_sel:DWORD dst_unused:UNUSED_PAD src0_sel:WORD_1 src1_sel:DWORD
	v_sub_u16_e32 v110, v126, v14
	v_mul_lo_u16_sdwa v14, v114, v28 dst_sel:DWORD dst_unused:UNUSED_PAD src0_sel:WORD_1 src1_sel:DWORD
	v_sub_u16_e32 v118, v26, v14
	v_mul_lo_u16_e32 v14, 24, v118
	v_mov_b32_e32 v15, v51
	v_lshl_add_u64 v[22:23], s[10:11], 0, v[14:15]
	s_waitcnt lgkmcnt(0)
	s_barrier
	global_load_dwordx4 v[14:17], v[22:23], off offset:144
	v_mul_lo_u16_e32 v18, 24, v110
	v_mov_b32_e32 v19, v51
	v_lshl_add_u64 v[24:25], s[10:11], 0, v[18:19]
	global_load_dwordx4 v[18:21], v[24:25], off offset:144
	global_load_dwordx2 v[82:83], v[22:23], off offset:160
	global_load_dwordx2 v[84:85], v[24:25], off offset:160
	v_mul_lo_u16_e32 v22, 24, v122
	v_sub_u16_e32 v22, v0, v22
	v_and_b32_e32 v127, 0xff, v22
	v_mad_u64_u32 v[28:29], s[16:17], v127, 24, s[10:11]
	global_load_dwordx4 v[22:25], v[28:29], off offset:144
	global_load_dwordx2 v[102:103], v[28:29], off offset:160
	ds_read2st64_b64 v[28:31], v50 offset0:16 offset1:20
	ds_read2st64_b64 v[32:35], v50 offset0:40 offset1:44
	s_movk_i32 s16, 0x60
	v_mul_lo_u16_sdwa v27, v27, s16 dst_sel:DWORD dst_unused:UNUSED_PAD src0_sel:WORD_1 src1_sel:DWORD
	v_or_b32_e32 v27, v27, v110
	v_lshlrev_b32_sdwa v140, v116, v27 dst_sel:DWORD dst_unused:UNUSED_PAD src0_sel:DWORD src1_sel:WORD_0
	v_mul_lo_u16_sdwa v27, v114, s16 dst_sel:DWORD dst_unused:UNUSED_PAD src0_sel:WORD_1 src1_sel:DWORD
	v_or_b32_e32 v27, v27, v118
	v_mul_u32_u24_e32 v118, 0x2ab, v26
	v_lshlrev_b32_sdwa v139, v116, v27 dst_sel:DWORD dst_unused:UNUSED_PAD src0_sel:DWORD src1_sel:WORD_0
	v_mul_lo_u16_sdwa v27, v118, s16 dst_sel:DWORD dst_unused:UNUSED_PAD src0_sel:WORD_1 src1_sel:DWORD
	s_waitcnt vmcnt(5) lgkmcnt(1)
	v_pk_mul_f32 v[36:37], v[30:31], v[14:15] op_sel_hi:[1,0]
	s_nop 0
	v_pk_fma_f32 v[38:39], v[30:31], v[14:15], v[36:37] op_sel:[0,1,1] op_sel_hi:[1,1,0]
	v_pk_fma_f32 v[40:41], v[30:31], v[14:15], v[36:37] op_sel:[0,1,1] op_sel_hi:[1,1,0] neg_lo:[1,0,0] neg_hi:[1,0,0]
	s_waitcnt vmcnt(4)
	v_pk_mul_f32 v[30:31], v[28:29], v[18:19] op_sel_hi:[1,0]
	v_mov_b32_e32 v100, v21
	v_pk_fma_f32 v[42:43], v[28:29], v[18:19], v[30:31] op_sel:[0,1,1] op_sel_hi:[1,1,0]
	v_pk_fma_f32 v[44:45], v[28:29], v[18:19], v[30:31] op_sel:[0,1,1] op_sel_hi:[1,1,0] neg_lo:[1,0,0] neg_hi:[1,0,0]
	s_waitcnt vmcnt(3) lgkmcnt(0)
	v_pk_mul_f32 v[28:29], v[34:35], v[82:83] op_sel_hi:[1,0]
	v_mov_b32_e32 v104, v17
	v_pk_fma_f32 v[46:47], v[34:35], v[82:83], v[28:29] op_sel:[0,1,1] op_sel_hi:[1,1,0]
	v_pk_fma_f32 v[48:49], v[34:35], v[82:83], v[28:29] op_sel:[0,1,1] op_sel_hi:[1,1,0] neg_lo:[1,0,0] neg_hi:[1,0,0]
	ds_read2st64_b64 v[28:31], v50 offset0:24 offset1:28
	s_waitcnt vmcnt(2)
	v_pk_mul_f32 v[34:35], v[32:33], v[84:85] op_sel_hi:[1,0]
	s_waitcnt vmcnt(1)
	v_mov_b32_e32 v98, v25
	v_pk_fma_f32 v[92:93], v[32:33], v[84:85], v[34:35] op_sel:[0,1,1] op_sel_hi:[1,1,0]
	v_pk_fma_f32 v[96:97], v[32:33], v[84:85], v[34:35] op_sel:[0,1,1] op_sel_hi:[1,1,0] neg_lo:[1,0,0] neg_hi:[1,0,0]
	s_waitcnt lgkmcnt(0)
	v_pk_mul_f32 v[32:33], v[30:31], v[100:101] op_sel_hi:[1,0]
	v_pk_mul_f32 v[34:35], v[28:29], v[98:99] op_sel_hi:[1,0]
	v_pk_fma_f32 v[106:107], v[30:31], v[20:21], v[32:33] op_sel:[0,0,1] op_sel_hi:[1,1,0] neg_lo:[0,0,1] neg_hi:[0,0,1]
	v_pk_fma_f32 v[112:113], v[30:31], v[20:21], v[32:33] op_sel:[0,0,1] op_sel_hi:[1,0,0]
	ds_read2st64_b64 v[30:33], v50 offset0:32 offset1:36
	v_pk_fma_f32 v[120:121], v[28:29], v[24:25], v[34:35] op_sel:[0,0,1] op_sel_hi:[1,1,0] neg_lo:[0,0,1] neg_hi:[0,0,1]
	v_pk_fma_f32 v[124:125], v[28:29], v[24:25], v[34:35] op_sel:[0,0,1] op_sel_hi:[1,0,0]
	ds_read2st64_b64 v[34:37], v50 offset0:8 offset1:12
	v_mov_b32_e32 v121, v125
	s_waitcnt lgkmcnt(1)
	v_pk_mul_f32 v[28:29], v[30:31], v[104:105] op_sel_hi:[1,0]
	v_mov_b32_e32 v107, v113
	v_pk_fma_f32 v[128:129], v[30:31], v[16:17], v[28:29] op_sel:[0,0,1] op_sel_hi:[1,1,0] neg_lo:[0,0,1] neg_hi:[0,0,1]
	v_pk_fma_f32 v[130:131], v[30:31], v[16:17], v[28:29] op_sel:[0,0,1] op_sel_hi:[1,0,0]
	s_waitcnt vmcnt(0)
	v_pk_mul_f32 v[28:29], v[32:33], v[102:103] op_sel:[0,1]
	s_waitcnt lgkmcnt(0)
	v_pk_mul_f32 v[134:135], v[36:37], v[22:23] op_sel:[0,1]
	v_pk_fma_f32 v[132:133], v[32:33], v[102:103], v[28:29] op_sel:[0,0,1] op_sel_hi:[1,1,0] neg_lo:[0,0,1] neg_hi:[0,0,1]
	v_pk_fma_f32 v[32:33], v[32:33], v[102:103], v[28:29] op_sel:[0,0,1] op_sel_hi:[1,0,0]
	ds_read2st64_b64 v[28:31], v50 offset1:4
	v_pk_fma_f32 v[136:137], v[36:37], v[22:23], v[134:135] op_sel:[0,0,1] op_sel_hi:[1,1,0] neg_lo:[0,0,1] neg_hi:[0,0,1]
	v_pk_fma_f32 v[36:37], v[36:37], v[22:23], v[134:135] op_sel:[0,0,1] op_sel_hi:[1,0,0]
	v_mov_b32_e32 v133, v33
	v_mov_b32_e32 v137, v37
	s_waitcnt lgkmcnt(0)
	v_pk_add_f32 v[32:33], v[28:29], v[120:121] neg_lo:[0,1] neg_hi:[0,1]
	v_pk_add_f32 v[36:37], v[136:137], v[132:133] neg_lo:[0,1] neg_hi:[0,1]
	v_mul_u32_u24_e32 v17, 0x60, v122
	v_pk_fma_f32 v[120:121], v[136:137], 2.0, v[36:37] op_sel_hi:[1,0,1] neg_lo:[0,0,1] neg_hi:[0,0,1]
	v_pk_add_f32 v[124:125], v[32:33], v[36:37] op_sel:[0,1] op_sel_hi:[1,0] neg_lo:[0,1] neg_hi:[0,1]
	v_pk_add_f32 v[36:37], v[32:33], v[36:37] op_sel:[0,1] op_sel_hi:[1,0]
	v_pk_fma_f32 v[28:29], v[28:29], 2.0, v[32:33] op_sel_hi:[1,0,1] neg_lo:[0,0,1] neg_hi:[0,0,1]
	v_mov_b32_e32 v125, v37
	v_or_b32_e32 v17, v17, v127
	v_pk_add_f32 v[36:37], v[28:29], v[120:121] neg_lo:[0,1] neg_hi:[0,1]
	v_lshlrev_b32_e32 v17, 3, v17
	v_pk_fma_f32 v[28:29], v[28:29], 2.0, v[36:37] op_sel_hi:[1,0,1] neg_lo:[0,0,1] neg_hi:[0,0,1]
	v_pk_fma_f32 v[32:33], v[32:33], 2.0, v[124:125] op_sel_hi:[1,0,1] neg_lo:[0,0,1] neg_hi:[0,0,1]
	v_mov_b32_e32 v43, v45
	v_mov_b32_e32 v93, v97
	s_barrier
	ds_write2_b64 v17, v[28:29], v[32:33] offset1:24
	ds_write2_b64 v17, v[36:37], v[124:125] offset0:48 offset1:72
	v_pk_add_f32 v[28:29], v[30:31], v[106:107] neg_lo:[0,1] neg_hi:[0,1]
	v_pk_add_f32 v[32:33], v[42:43], v[92:93] neg_lo:[0,1] neg_hi:[0,1]
	v_pk_fma_f32 v[30:31], v[30:31], 2.0, v[28:29] op_sel_hi:[1,0,1] neg_lo:[0,0,1] neg_hi:[0,0,1]
	v_pk_add_f32 v[36:37], v[28:29], v[32:33] neg_lo:[0,1] neg_hi:[0,1]
	v_pk_add_f32 v[44:45], v[28:29], v[32:33]
	v_pk_fma_f32 v[32:33], v[42:43], 2.0, v[32:33] op_sel_hi:[1,0,1] neg_lo:[0,0,1] neg_hi:[0,0,1]
	v_mov_b32_e32 v37, v45
	v_pk_add_f32 v[32:33], v[30:31], v[32:33] op_sel:[0,1] op_sel_hi:[1,0] neg_lo:[0,1] neg_hi:[0,1]
	v_pk_fma_f32 v[28:29], v[28:29], 2.0, v[36:37] op_sel_hi:[1,0,1] neg_lo:[0,0,1] neg_hi:[0,0,1]
	v_pk_fma_f32 v[30:31], v[30:31], 2.0, v[32:33] op_sel_hi:[1,0,1] neg_lo:[0,0,1] neg_hi:[0,0,1]
	v_mov_b32_e32 v129, v131
	v_mov_b32_e32 v39, v41
	v_mov_b32_e32 v47, v49
	ds_write2_b64 v140, v[30:31], v[28:29] offset1:24
	ds_write2_b64 v140, v[32:33], v[36:37] offset0:48 offset1:72
	v_pk_add_f32 v[28:29], v[34:35], v[128:129] neg_lo:[0,1] neg_hi:[0,1]
	v_pk_add_f32 v[30:31], v[38:39], v[46:47] neg_lo:[0,1] neg_hi:[0,1]
	v_pk_fma_f32 v[34:35], v[34:35], 2.0, v[28:29] op_sel_hi:[1,0,1] neg_lo:[0,0,1] neg_hi:[0,0,1]
	v_pk_add_f32 v[32:33], v[28:29], v[30:31] neg_lo:[0,1] neg_hi:[0,1]
	v_pk_add_f32 v[36:37], v[28:29], v[30:31]
	v_pk_fma_f32 v[30:31], v[38:39], 2.0, v[30:31] op_sel_hi:[1,0,1] neg_lo:[0,0,1] neg_hi:[0,0,1]
	v_mov_b32_e32 v33, v37
	v_pk_add_f32 v[30:31], v[34:35], v[30:31] op_sel:[0,1] op_sel_hi:[1,0] neg_lo:[0,1] neg_hi:[0,1]
	v_sub_u16_e32 v122, v26, v27
	v_pk_fma_f32 v[28:29], v[28:29], 2.0, v[32:33] op_sel_hi:[1,0,1] neg_lo:[0,0,1] neg_hi:[0,0,1]
	v_pk_fma_f32 v[34:35], v[34:35], 2.0, v[30:31] op_sel_hi:[1,0,1] neg_lo:[0,0,1] neg_hi:[0,0,1]
	v_mul_lo_u16_e32 v26, 24, v122
	v_mov_b32_e32 v27, v51
	v_mul_u32_u24_e32 v127, 0x2ab, v126
	ds_write2_b64 v139, v[34:35], v[28:29] offset1:24
	ds_write2_b64 v139, v[30:31], v[32:33] offset0:48 offset1:72
	v_lshl_add_u64 v[34:35], s[10:11], 0, v[26:27]
	v_mul_lo_u16_sdwa v26, v127, s16 dst_sel:DWORD dst_unused:UNUSED_PAD src0_sel:WORD_1 src1_sel:DWORD
	s_waitcnt lgkmcnt(0)
	s_barrier
	v_sub_u16_e32 v141, v126, v26
	global_load_dwordx4 v[30:33], v[34:35], off offset:720
	v_mul_lo_u16_e32 v26, 24, v141
	v_lshl_add_u64 v[36:37], s[10:11], 0, v[26:27]
	global_load_dwordx4 v[26:29], v[36:37], off offset:720
	global_load_dwordx2 v[92:93], v[34:35], off offset:736
	global_load_dwordx2 v[96:97], v[36:37], off offset:736
	v_mul_lo_u16_e32 v34, 0x60, v154
	v_sub_u16_e32 v34, v0, v34
	v_and_b32_e32 v155, 0xff, v34
	v_mad_u64_u32 v[38:39], s[16:17], v155, 24, s[10:11]
	global_load_dwordx4 v[34:37], v[38:39], off offset:720
	global_load_dwordx2 v[112:113], v[38:39], off offset:736
	ds_read2st64_b64 v[38:41], v50 offset0:16 offset1:20
	ds_read2st64_b64 v[42:45], v50 offset0:40 offset1:44
	s_movk_i32 s16, 0x180
	s_waitcnt vmcnt(5) lgkmcnt(1)
	v_pk_mul_f32 v[46:47], v[40:41], v[30:31] op_sel_hi:[1,0]
	s_nop 0
	v_pk_fma_f32 v[48:49], v[40:41], v[30:31], v[46:47] op_sel:[0,1,1] op_sel_hi:[1,1,0]
	v_pk_fma_f32 v[46:47], v[40:41], v[30:31], v[46:47] op_sel:[0,1,1] op_sel_hi:[1,1,0] neg_lo:[1,0,0] neg_hi:[1,0,0]
	s_waitcnt vmcnt(4)
	v_pk_mul_f32 v[40:41], v[38:39], v[26:27] op_sel_hi:[1,0]
	s_waitcnt vmcnt(2) lgkmcnt(0)
	v_pk_mul_f32 v[128:129], v[42:43], v[96:97] op_sel_hi:[1,0]
	v_pk_fma_f32 v[106:107], v[38:39], v[26:27], v[40:41] op_sel:[0,1,1] op_sel_hi:[1,1,0]
	v_pk_fma_f32 v[120:121], v[38:39], v[26:27], v[40:41] op_sel:[0,1,1] op_sel_hi:[1,1,0] neg_lo:[1,0,0] neg_hi:[1,0,0]
	v_pk_mul_f32 v[38:39], v[44:45], v[92:93] op_sel_hi:[1,0]
	v_mov_b32_e32 v110, v29
	v_pk_fma_f32 v[124:125], v[44:45], v[92:93], v[38:39] op_sel:[0,1,1] op_sel_hi:[1,1,0]
	v_pk_fma_f32 v[44:45], v[44:45], v[92:93], v[38:39] op_sel:[0,1,1] op_sel_hi:[1,1,0] neg_lo:[1,0,0] neg_hi:[1,0,0]
	ds_read2st64_b64 v[38:41], v50 offset0:24 offset1:28
	v_pk_fma_f32 v[130:131], v[42:43], v[96:97], v[128:129] op_sel:[0,1,1] op_sel_hi:[1,1,0]
	v_pk_fma_f32 v[128:129], v[42:43], v[96:97], v[128:129] op_sel:[0,1,1] op_sel_hi:[1,1,0] neg_lo:[1,0,0] neg_hi:[1,0,0]
	s_waitcnt vmcnt(1)
	v_mov_b32_e32 v108, v37
	v_mov_b32_e32 v114, v33
	s_waitcnt lgkmcnt(0)
	v_pk_mul_f32 v[42:43], v[40:41], v[110:111] op_sel_hi:[1,0]
	v_pk_mul_f32 v[136:137], v[38:39], v[108:109] op_sel_hi:[1,0]
	v_pk_fma_f32 v[132:133], v[40:41], v[28:29], v[42:43] op_sel:[0,0,1] op_sel_hi:[1,1,0] neg_lo:[0,0,1] neg_hi:[0,0,1]
	v_pk_fma_f32 v[134:135], v[40:41], v[28:29], v[42:43] op_sel:[0,0,1] op_sel_hi:[1,0,0]
	ds_read2st64_b64 v[40:43], v50 offset0:32 offset1:36
	v_pk_fma_f32 v[142:143], v[38:39], v[36:37], v[136:137] op_sel:[0,0,1] op_sel_hi:[1,1,0] neg_lo:[0,0,1] neg_hi:[0,0,1]
	v_pk_fma_f32 v[136:137], v[38:39], v[36:37], v[136:137] op_sel:[0,0,1] op_sel_hi:[1,0,0]
	v_mov_b32_e32 v133, v135
	v_mov_b32_e32 v143, v137
	s_waitcnt lgkmcnt(0)
	v_pk_mul_f32 v[38:39], v[40:41], v[114:115] op_sel_hi:[1,0]
	v_mov_b32_e32 v107, v121
	v_pk_fma_f32 v[146:147], v[40:41], v[32:33], v[38:39] op_sel:[0,0,1] op_sel_hi:[1,1,0] neg_lo:[0,0,1] neg_hi:[0,0,1]
	v_pk_fma_f32 v[144:145], v[40:41], v[32:33], v[38:39] op_sel:[0,0,1] op_sel_hi:[1,0,0]
	s_waitcnt vmcnt(0)
	v_pk_mul_f32 v[38:39], v[42:43], v[112:113] op_sel:[0,1]
	v_mul_u32_u24_e32 v33, 0x180, v154
	v_pk_fma_f32 v[148:149], v[42:43], v[112:113], v[38:39] op_sel:[0,0,1] op_sel_hi:[1,1,0] neg_lo:[0,0,1] neg_hi:[0,0,1]
	v_pk_fma_f32 v[42:43], v[42:43], v[112:113], v[38:39] op_sel:[0,0,1] op_sel_hi:[1,0,0]
	ds_read2st64_b64 v[38:41], v50 offset0:8 offset1:12
	v_mov_b32_e32 v149, v43
	v_or_b32_e32 v33, v33, v155
	v_lshlrev_b32_e32 v33, 3, v33
	v_mov_b32_e32 v131, v129
	s_waitcnt lgkmcnt(0)
	v_pk_mul_f32 v[150:151], v[40:41], v[34:35] op_sel:[0,1]
	v_pk_add_f32 v[120:121], v[106:107], v[130:131] neg_lo:[0,1] neg_hi:[0,1]
	v_pk_fma_f32 v[152:153], v[40:41], v[34:35], v[150:151] op_sel:[0,0,1] op_sel_hi:[1,1,0] neg_lo:[0,0,1] neg_hi:[0,0,1]
	v_pk_fma_f32 v[40:41], v[40:41], v[34:35], v[150:151] op_sel:[0,0,1] op_sel_hi:[1,0,0]
	v_pk_fma_f32 v[106:107], v[106:107], 2.0, v[120:121] op_sel_hi:[1,0,1] neg_lo:[0,0,1] neg_hi:[0,0,1]
	v_mov_b32_e32 v153, v41
	ds_read2st64_b64 v[40:43], v50 offset1:4
	s_waitcnt lgkmcnt(0)
	s_barrier
	v_mul_lo_u16_sdwa v44, v127, s16 dst_sel:DWORD dst_unused:UNUSED_PAD src0_sel:WORD_1 src1_sel:DWORD
	v_pk_add_f32 v[136:137], v[40:41], v[142:143] neg_lo:[0,1] neg_hi:[0,1]
	v_pk_add_f32 v[142:143], v[152:153], v[148:149] neg_lo:[0,1] neg_hi:[0,1]
	v_pk_fma_f32 v[40:41], v[40:41], 2.0, v[136:137] op_sel_hi:[1,0,1] neg_lo:[0,0,1] neg_hi:[0,0,1]
	v_pk_fma_f32 v[148:149], v[152:153], 2.0, v[142:143] op_sel_hi:[1,0,1] neg_lo:[0,0,1] neg_hi:[0,0,1]
	v_pk_add_f32 v[150:151], v[136:137], v[142:143] op_sel:[0,1] op_sel_hi:[1,0] neg_lo:[0,1] neg_hi:[0,1]
	v_pk_add_f32 v[142:143], v[136:137], v[142:143] op_sel:[0,1] op_sel_hi:[1,0]
	v_pk_add_f32 v[148:149], v[40:41], v[148:149] neg_lo:[0,1] neg_hi:[0,1]
	v_mov_b32_e32 v151, v143
	v_pk_fma_f32 v[40:41], v[40:41], 2.0, v[148:149] op_sel_hi:[1,0,1] neg_lo:[0,0,1] neg_hi:[0,0,1]
	v_pk_fma_f32 v[136:137], v[136:137], 2.0, v[150:151] op_sel_hi:[1,0,1] neg_lo:[0,0,1] neg_hi:[0,0,1]
	ds_write2_b64 v33, v[40:41], v[136:137] offset1:96
	v_pk_add_f32 v[40:41], v[42:43], v[132:133] neg_lo:[0,1] neg_hi:[0,1]
	v_or_b32_e32 v44, v44, v141
	v_pk_add_f32 v[128:129], v[40:41], v[120:121] neg_lo:[0,1] neg_hi:[0,1]
	v_pk_add_f32 v[130:131], v[40:41], v[120:121]
	v_pk_fma_f32 v[42:43], v[42:43], 2.0, v[40:41] op_sel_hi:[1,0,1] neg_lo:[0,0,1] neg_hi:[0,0,1]
	v_mov_b32_e32 v129, v131
	v_pk_add_f32 v[106:107], v[42:43], v[106:107] op_sel:[0,1] op_sel_hi:[1,0] neg_lo:[0,1] neg_hi:[0,1]
	v_add_u32_e32 v143, 0x400, v33
	v_lshlrev_b32_sdwa v141, v116, v44 dst_sel:DWORD dst_unused:UNUSED_PAD src0_sel:DWORD src1_sel:WORD_0
	v_pk_fma_f32 v[40:41], v[40:41], 2.0, v[128:129] op_sel_hi:[1,0,1] neg_lo:[0,0,1] neg_hi:[0,0,1]
	v_pk_fma_f32 v[42:43], v[42:43], 2.0, v[106:107] op_sel_hi:[1,0,1] neg_lo:[0,0,1] neg_hi:[0,0,1]
	v_mov_b32_e32 v147, v145
	v_mov_b32_e32 v49, v47
	;; [unrolled: 1-line block ×3, first 2 shown]
	ds_write2_b64 v143, v[148:149], v[150:151] offset0:64 offset1:160
	ds_write2_b64 v141, v[42:43], v[40:41] offset1:96
	v_pk_add_f32 v[40:41], v[38:39], v[146:147] neg_lo:[0,1] neg_hi:[0,1]
	v_pk_add_f32 v[42:43], v[48:49], v[124:125] neg_lo:[0,1] neg_hi:[0,1]
	v_pk_fma_f32 v[38:39], v[38:39], 2.0, v[40:41] op_sel_hi:[1,0,1] neg_lo:[0,0,1] neg_hi:[0,0,1]
	v_pk_add_f32 v[46:47], v[40:41], v[42:43]
	v_pk_add_f32 v[44:45], v[40:41], v[42:43] neg_lo:[0,1] neg_hi:[0,1]
	v_mul_lo_u16_sdwa v46, v118, s16 dst_sel:DWORD dst_unused:UNUSED_PAD src0_sel:WORD_1 src1_sel:DWORD
	v_or_b32_e32 v46, v46, v122
	v_pk_fma_f32 v[42:43], v[48:49], 2.0, v[42:43] op_sel_hi:[1,0,1] neg_lo:[0,0,1] neg_hi:[0,0,1]
	v_lshlrev_b32_sdwa v142, v116, v46 dst_sel:DWORD dst_unused:UNUSED_PAD src0_sel:DWORD src1_sel:WORD_0
	v_add_u32_e32 v144, 0x400, v141
	v_mov_b32_e32 v45, v47
	v_pk_add_f32 v[42:43], v[38:39], v[42:43] op_sel:[0,1] op_sel_hi:[1,0] neg_lo:[0,1] neg_hi:[0,1]
	v_add_u32_e32 v145, 0x400, v142
	ds_write2_b64 v144, v[106:107], v[128:129] offset0:64 offset1:160
	v_pk_fma_f32 v[40:41], v[40:41], 2.0, v[44:45] op_sel_hi:[1,0,1] neg_lo:[0,0,1] neg_hi:[0,0,1]
	v_pk_fma_f32 v[38:39], v[38:39], 2.0, v[42:43] op_sel_hi:[1,0,1] neg_lo:[0,0,1] neg_hi:[0,0,1]
	ds_write2_b64 v145, v[42:43], v[44:45] offset0:64 offset1:160
	v_mad_u64_u32 v[42:43], s[16:17], v0, 24, s[10:11]
	ds_write2_b64 v142, v[38:39], v[40:41] offset1:96
	v_add_co_u32_e32 v38, vcc, s18, v42
	s_waitcnt lgkmcnt(0)
	s_nop 0
	v_addc_co_u32_e32 v39, vcc, 0, v43, vcc
	s_barrier
	global_load_dwordx4 v[38:41], v[38:39], off offset:2000
	s_nop 0
	global_load_dwordx2 v[106:107], v[42:43], off offset:3040
	ds_read2st64_b64 v[44:47], v50 offset0:32 offset1:36
	s_mov_b64 s[16:17], 0x17d0
	v_lshl_add_u64 v[48:49], v[42:43], 0, s[16:17]
	ds_read2st64_b64 v[128:131], v50 offset0:16 offset1:20
	global_load_dwordx2 v[120:121], v[48:49], off offset:16
	v_mov_b32_e32 v127, v51
	s_mov_b64 s[16:17], 0x180
	v_cmp_gt_u64_e32 vcc, s[16:17], v[126:127]
	s_mov_b64 s[16:17], 0x17f
	s_waitcnt vmcnt(2)
	v_mov_b32_e32 v116, v41
	s_waitcnt lgkmcnt(1)
	v_pk_mul_f32 v[48:49], v[44:45], v[116:117] op_sel_hi:[1,0]
	s_nop 0
	v_pk_fma_f32 v[134:135], v[44:45], v[40:41], v[48:49] op_sel:[0,0,1] op_sel_hi:[1,1,0] neg_lo:[0,0,1] neg_hi:[0,0,1]
	v_pk_fma_f32 v[136:137], v[44:45], v[40:41], v[48:49] op_sel:[0,0,1] op_sel_hi:[1,0,0]
	v_add_u32_e32 v41, 0xffffff80, v0
	s_waitcnt vmcnt(1)
	v_pk_mul_f32 v[48:49], v[46:47], v[106:107] op_sel:[0,1]
	v_cndmask_b32_e32 v41, v41, v126, vcc
	v_pk_fma_f32 v[146:147], v[46:47], v[106:107], v[48:49] op_sel:[0,0,1] op_sel_hi:[1,1,0] neg_lo:[0,0,1] neg_hi:[0,0,1]
	v_pk_fma_f32 v[132:133], v[46:47], v[106:107], v[48:49] op_sel:[0,0,1] op_sel_hi:[1,0,0]
	v_mul_hi_i32_i24_e32 v47, 24, v41
	v_mul_i32_i24_e32 v46, 24, v41
	v_lshl_add_u64 v[46:47], s[10:11], 0, v[46:47]
	s_waitcnt lgkmcnt(0)
	v_pk_mul_f32 v[48:49], v[130:131], v[38:39] op_sel:[0,1]
	global_load_dwordx4 v[42:45], v[42:43], off offset:3024
	v_pk_fma_f32 v[148:149], v[130:131], v[38:39], v[48:49] op_sel:[0,0,1] op_sel_hi:[1,1,0] neg_lo:[0,0,1] neg_hi:[0,0,1]
	v_pk_fma_f32 v[150:151], v[130:131], v[38:39], v[48:49] op_sel:[0,0,1] op_sel_hi:[1,0,0]
	global_load_dwordx2 v[124:125], v[46:47], off offset:3040
	s_nop 0
	global_load_dwordx4 v[46:49], v[46:47], off offset:3024
	v_mov_b32_e32 v147, v133
	v_cmp_lt_u64_e32 vcc, s[16:17], v[126:127]
	v_mov_b32_e32 v149, v151
	v_mov_b32_e32 v135, v137
	s_movk_i32 s16, 0x2000
	s_waitcnt vmcnt(2)
	v_mov_b32_e32 v118, v45
	s_waitcnt vmcnt(0)
	v_pk_mul_f32 v[130:131], v[128:129], v[46:47] op_sel:[0,1]
	s_nop 0
	v_pk_fma_f32 v[152:153], v[128:129], v[46:47], v[130:131] op_sel:[0,0,1] op_sel_hi:[1,1,0] neg_lo:[0,0,1] neg_hi:[0,0,1]
	v_pk_fma_f32 v[154:155], v[128:129], v[46:47], v[130:131] op_sel:[0,0,1] op_sel_hi:[1,0,0]
	ds_read2st64_b64 v[128:131], v50 offset0:24 offset1:28
	v_mov_b32_e32 v122, v49
	v_mov_b32_e32 v153, v155
	s_waitcnt lgkmcnt(0)
	v_pk_mul_f32 v[156:157], v[128:129], v[118:119] op_sel_hi:[1,0]
	s_nop 0
	v_pk_fma_f32 v[158:159], v[128:129], v[44:45], v[156:157] op_sel:[0,0,1] op_sel_hi:[1,1,0] neg_lo:[0,0,1] neg_hi:[0,0,1]
	v_pk_fma_f32 v[156:157], v[128:129], v[44:45], v[156:157] op_sel:[0,0,1] op_sel_hi:[1,0,0]
	v_pk_mul_f32 v[128:129], v[130:131], v[122:123] op_sel_hi:[1,0]
	v_mov_b32_e32 v159, v157
	v_pk_fma_f32 v[160:161], v[130:131], v[48:49], v[128:129] op_sel:[0,0,1] op_sel_hi:[1,1,0] neg_lo:[0,0,1] neg_hi:[0,0,1]
	v_pk_fma_f32 v[162:163], v[130:131], v[48:49], v[128:129] op_sel:[0,0,1] op_sel_hi:[1,0,0]
	ds_read2st64_b64 v[128:131], v50 offset0:40 offset1:44
	v_mov_b32_e32 v161, v163
	v_mov_b32_e32 v45, 0x600
	v_cndmask_b32_e32 v45, 0, v45, vcc
	v_or_b32_e32 v41, v45, v41
	s_waitcnt lgkmcnt(0)
	v_pk_mul_f32 v[164:165], v[130:131], v[120:121] op_sel:[0,1]
	v_lshlrev_b32_e32 v41, 3, v41
	v_pk_fma_f32 v[166:167], v[130:131], v[120:121], v[164:165] op_sel:[0,0,1] op_sel_hi:[1,1,0] neg_lo:[0,0,1] neg_hi:[0,0,1]
	v_pk_fma_f32 v[164:165], v[130:131], v[120:121], v[164:165] op_sel:[0,0,1] op_sel_hi:[1,0,0]
	v_pk_mul_f32 v[130:131], v[128:129], v[124:125] op_sel:[0,1]
	v_mov_b32_e32 v167, v165
	v_pk_fma_f32 v[168:169], v[128:129], v[124:125], v[130:131] op_sel:[0,0,1] op_sel_hi:[1,1,0] neg_lo:[0,0,1] neg_hi:[0,0,1]
	v_pk_fma_f32 v[170:171], v[128:129], v[124:125], v[130:131] op_sel:[0,0,1] op_sel_hi:[1,0,0]
	ds_read2st64_b64 v[128:131], v50 offset0:8 offset1:12
	v_mov_b32_e32 v169, v171
	s_waitcnt lgkmcnt(0)
	v_pk_mul_f32 v[172:173], v[130:131], v[42:43] op_sel:[0,1]
	s_nop 0
	v_pk_fma_f32 v[174:175], v[130:131], v[42:43], v[172:173] op_sel:[0,0,1] op_sel_hi:[1,1,0] neg_lo:[0,0,1] neg_hi:[0,0,1]
	v_pk_fma_f32 v[130:131], v[130:131], v[42:43], v[172:173] op_sel:[0,0,1] op_sel_hi:[1,0,0]
	s_nop 0
	v_mov_b32_e32 v175, v131
	ds_read2st64_b64 v[130:133], v50 offset1:4
	v_pk_add_f32 v[146:147], v[174:175], v[146:147] neg_lo:[0,1] neg_hi:[0,1]
	s_waitcnt lgkmcnt(0)
	s_barrier
	v_pk_add_f32 v[156:157], v[130:131], v[158:159] neg_lo:[0,1] neg_hi:[0,1]
	v_pk_fma_f32 v[158:159], v[174:175], 2.0, v[146:147] op_sel_hi:[1,0,1] neg_lo:[0,0,1] neg_hi:[0,0,1]
	v_pk_add_f32 v[172:173], v[156:157], v[146:147] op_sel:[0,1] op_sel_hi:[1,0] neg_lo:[0,1] neg_hi:[0,1]
	v_pk_add_f32 v[146:147], v[156:157], v[146:147] op_sel:[0,1] op_sel_hi:[1,0]
	v_pk_fma_f32 v[130:131], v[130:131], 2.0, v[156:157] op_sel_hi:[1,0,1] neg_lo:[0,0,1] neg_hi:[0,0,1]
	v_mov_b32_e32 v173, v147
	v_pk_add_f32 v[146:147], v[130:131], v[158:159] neg_lo:[0,1] neg_hi:[0,1]
	v_pk_fma_f32 v[156:157], v[156:157], 2.0, v[172:173] op_sel_hi:[1,0,1] neg_lo:[0,0,1] neg_hi:[0,0,1]
	v_pk_fma_f32 v[130:131], v[130:131], 2.0, v[146:147] op_sel_hi:[1,0,1] neg_lo:[0,0,1] neg_hi:[0,0,1]
	ds_write2st64_b64 v50, v[130:131], v[156:157] offset1:6
	ds_write2st64_b64 v50, v[146:147], v[172:173] offset0:12 offset1:18
	v_pk_add_f32 v[130:131], v[132:133], v[160:161] neg_lo:[0,1] neg_hi:[0,1]
	v_pk_add_f32 v[146:147], v[152:153], v[168:169] neg_lo:[0,1] neg_hi:[0,1]
	v_pk_fma_f32 v[132:133], v[132:133], 2.0, v[130:131] op_sel_hi:[1,0,1] neg_lo:[0,0,1] neg_hi:[0,0,1]
	v_pk_fma_f32 v[152:153], v[152:153], 2.0, v[146:147] op_sel_hi:[1,0,1] neg_lo:[0,0,1] neg_hi:[0,0,1]
	v_pk_add_f32 v[154:155], v[130:131], v[146:147] op_sel:[0,1] op_sel_hi:[1,0] neg_lo:[0,1] neg_hi:[0,1]
	v_pk_add_f32 v[146:147], v[130:131], v[146:147] op_sel:[0,1] op_sel_hi:[1,0]
	v_pk_add_f32 v[126:127], v[132:133], v[152:153] neg_lo:[0,1] neg_hi:[0,1]
	v_mov_b32_e32 v155, v147
	v_pk_fma_f32 v[132:133], v[132:133], 2.0, v[126:127] op_sel_hi:[1,0,1] neg_lo:[0,0,1] neg_hi:[0,0,1]
	v_pk_fma_f32 v[130:131], v[130:131], 2.0, v[154:155] op_sel_hi:[1,0,1] neg_lo:[0,0,1] neg_hi:[0,0,1]
	ds_write2st64_b64 v41, v[132:133], v[130:131] offset1:6
	ds_write2st64_b64 v41, v[126:127], v[154:155] offset0:12 offset1:18
	v_pk_add_f32 v[126:127], v[128:129], v[134:135] neg_lo:[0,1] neg_hi:[0,1]
	v_pk_add_f32 v[130:131], v[148:149], v[166:167] neg_lo:[0,1] neg_hi:[0,1]
	v_pk_fma_f32 v[128:129], v[128:129], 2.0, v[126:127] op_sel_hi:[1,0,1] neg_lo:[0,0,1] neg_hi:[0,0,1]
	v_pk_fma_f32 v[132:133], v[148:149], 2.0, v[130:131] op_sel_hi:[1,0,1] neg_lo:[0,0,1] neg_hi:[0,0,1]
	v_pk_add_f32 v[134:135], v[126:127], v[130:131] op_sel:[0,1] op_sel_hi:[1,0] neg_lo:[0,1] neg_hi:[0,1]
	v_pk_add_f32 v[130:131], v[126:127], v[130:131] op_sel:[0,1] op_sel_hi:[1,0]
	v_lshl_add_u64 v[146:147], s[10:11], 0, v[50:51]
	v_mov_b32_e32 v135, v131
	v_pk_add_f32 v[130:131], v[128:129], v[132:133] neg_lo:[0,1] neg_hi:[0,1]
	v_pk_fma_f32 v[126:127], v[126:127], 2.0, v[134:135] op_sel_hi:[1,0,1] neg_lo:[0,0,1] neg_hi:[0,0,1]
	v_pk_fma_f32 v[128:129], v[128:129], 2.0, v[130:131] op_sel_hi:[1,0,1] neg_lo:[0,0,1] neg_hi:[0,0,1]
	ds_write2st64_b64 v50, v[128:129], v[126:127] offset0:26 offset1:32
	ds_write2st64_b64 v50, v[130:131], v[134:135] offset0:38 offset1:44
	v_add_co_u32_e32 v126, vcc, s16, v146
	s_movk_i32 s10, 0x3000
	s_nop 0
	v_addc_co_u32_e32 v127, vcc, 0, v147, vcc
	s_waitcnt lgkmcnt(0)
	s_barrier
	global_load_dwordx2 v[126:127], v[126:127], off offset:4048
	v_add_co_u32_e32 v130, vcc, s10, v146
	s_movk_i32 s10, 0x4000
	s_nop 0
	v_addc_co_u32_e32 v131, vcc, 0, v147, vcc
	global_load_dwordx2 v[128:129], v[130:131], off offset:2000
	s_nop 0
	global_load_dwordx2 v[130:131], v[130:131], off offset:4048
	v_add_co_u32_e32 v148, vcc, s10, v146
	ds_read2st64_b64 v[134:137], v50 offset0:24 offset1:28
	s_nop 0
	v_addc_co_u32_e32 v149, vcc, 0, v147, vcc
	global_load_dwordx2 v[132:133], v[148:149], off offset:2000
	s_movk_i32 s10, 0x5000
	s_waitcnt vmcnt(3) lgkmcnt(0)
	v_pk_mul_f32 v[150:151], v[134:135], v[126:127] op_sel:[0,1]
	s_nop 0
	v_pk_fma_f32 v[152:153], v[134:135], v[126:127], v[150:151] op_sel:[0,0,1] op_sel_hi:[1,1,0] neg_lo:[0,0,1] neg_hi:[0,0,1]
	v_pk_fma_f32 v[134:135], v[134:135], v[126:127], v[150:151] op_sel:[0,0,1] op_sel_hi:[1,0,0]
	s_waitcnt vmcnt(2)
	v_pk_mul_f32 v[150:151], v[136:137], v[128:129] op_sel:[0,1]
	s_nop 0
	v_pk_fma_f32 v[154:155], v[136:137], v[128:129], v[150:151] op_sel:[0,0,1] op_sel_hi:[1,1,0] neg_lo:[0,0,1] neg_hi:[0,0,1]
	v_pk_fma_f32 v[136:137], v[136:137], v[128:129], v[150:151] op_sel:[0,0,1] op_sel_hi:[1,0,0]
	v_mov_b32_e32 v153, v135
	v_mov_b32_e32 v155, v137
	ds_read2st64_b64 v[134:137], v50 offset1:4
	s_waitcnt lgkmcnt(0)
	v_pk_add_f32 v[150:151], v[134:135], v[152:153] neg_lo:[0,1] neg_hi:[0,1]
	v_pk_add_f32 v[152:153], v[136:137], v[154:155] neg_lo:[0,1] neg_hi:[0,1]
	v_pk_fma_f32 v[134:135], v[134:135], 2.0, v[150:151] op_sel_hi:[1,0,1] neg_lo:[0,0,1] neg_hi:[0,0,1]
	v_pk_fma_f32 v[136:137], v[136:137], 2.0, v[152:153] op_sel_hi:[1,0,1] neg_lo:[0,0,1] neg_hi:[0,0,1]
	ds_write2st64_b64 v50, v[134:135], v[136:137] offset1:4
	ds_write2st64_b64 v50, v[150:151], v[152:153] offset0:24 offset1:28
	ds_read2st64_b64 v[134:137], v50 offset0:32 offset1:36
	s_waitcnt vmcnt(1) lgkmcnt(0)
	v_pk_mul_f32 v[150:151], v[134:135], v[130:131] op_sel:[0,1]
	s_nop 0
	v_pk_fma_f32 v[152:153], v[134:135], v[130:131], v[150:151] op_sel:[0,0,1] op_sel_hi:[1,1,0] neg_lo:[0,0,1] neg_hi:[0,0,1]
	v_pk_fma_f32 v[134:135], v[134:135], v[130:131], v[150:151] op_sel:[0,0,1] op_sel_hi:[1,0,0]
	s_waitcnt vmcnt(0)
	v_pk_mul_f32 v[150:151], v[136:137], v[132:133] op_sel:[0,1]
	v_mov_b32_e32 v153, v135
	v_pk_fma_f32 v[154:155], v[136:137], v[132:133], v[150:151] op_sel:[0,0,1] op_sel_hi:[1,1,0] neg_lo:[0,0,1] neg_hi:[0,0,1]
	v_pk_fma_f32 v[136:137], v[136:137], v[132:133], v[150:151] op_sel:[0,0,1] op_sel_hi:[1,0,0]
	s_nop 0
	v_mov_b32_e32 v155, v137
	ds_read2st64_b64 v[134:137], v50 offset0:8 offset1:12
	s_waitcnt lgkmcnt(0)
	v_pk_add_f32 v[150:151], v[134:135], v[152:153] neg_lo:[0,1] neg_hi:[0,1]
	v_pk_add_f32 v[152:153], v[136:137], v[154:155] neg_lo:[0,1] neg_hi:[0,1]
	v_pk_fma_f32 v[134:135], v[134:135], 2.0, v[150:151] op_sel_hi:[1,0,1] neg_lo:[0,0,1] neg_hi:[0,0,1]
	v_pk_fma_f32 v[136:137], v[136:137], 2.0, v[152:153] op_sel_hi:[1,0,1] neg_lo:[0,0,1] neg_hi:[0,0,1]
	ds_write2st64_b64 v50, v[134:135], v[136:137] offset0:8 offset1:12
	ds_write2st64_b64 v50, v[150:151], v[152:153] offset0:32 offset1:36
	v_add_co_u32_e32 v134, vcc, s10, v146
	s_nop 1
	v_addc_co_u32_e32 v135, vcc, 0, v147, vcc
	global_load_dwordx2 v[136:137], v[148:149], off offset:4048
	s_nop 0
	global_load_dwordx2 v[134:135], v[134:135], off offset:2000
	ds_read2st64_b64 v[146:149], v50 offset0:40 offset1:44
	s_waitcnt vmcnt(1) lgkmcnt(0)
	v_pk_mul_f32 v[150:151], v[146:147], v[136:137] op_sel:[0,1]
	s_nop 0
	v_pk_fma_f32 v[152:153], v[146:147], v[136:137], v[150:151] op_sel:[0,0,1] op_sel_hi:[1,1,0] neg_lo:[0,0,1] neg_hi:[0,0,1]
	v_pk_fma_f32 v[146:147], v[146:147], v[136:137], v[150:151] op_sel:[0,0,1] op_sel_hi:[1,0,0]
	s_waitcnt vmcnt(0)
	v_pk_mul_f32 v[150:151], v[148:149], v[134:135] op_sel:[0,1]
	v_mov_b32_e32 v153, v147
	v_pk_fma_f32 v[154:155], v[148:149], v[134:135], v[150:151] op_sel:[0,0,1] op_sel_hi:[1,1,0] neg_lo:[0,0,1] neg_hi:[0,0,1]
	v_pk_fma_f32 v[148:149], v[148:149], v[134:135], v[150:151] op_sel:[0,0,1] op_sel_hi:[1,0,0]
	s_nop 0
	v_mov_b32_e32 v155, v149
	ds_read2st64_b64 v[146:149], v50 offset0:16 offset1:20
	s_waitcnt lgkmcnt(0)
	v_pk_add_f32 v[150:151], v[146:147], v[152:153] neg_lo:[0,1] neg_hi:[0,1]
	v_pk_add_f32 v[152:153], v[148:149], v[154:155] neg_lo:[0,1] neg_hi:[0,1]
	v_pk_fma_f32 v[146:147], v[146:147], 2.0, v[150:151] op_sel_hi:[1,0,1] neg_lo:[0,0,1] neg_hi:[0,0,1]
	v_pk_fma_f32 v[148:149], v[148:149], 2.0, v[152:153] op_sel_hi:[1,0,1] neg_lo:[0,0,1] neg_hi:[0,0,1]
	ds_write2st64_b64 v50, v[146:147], v[148:149] offset0:16 offset1:20
	ds_write2st64_b64 v50, v[150:151], v[152:153] offset0:40 offset1:44
	s_waitcnt lgkmcnt(0)
	s_barrier
	global_load_dwordx2 v[150:151], v50, s[2:3] offset:2048
	global_load_dwordx2 v[152:153], v119, s[2:3]
	global_load_dwordx2 v[154:155], v50, s[2:3]
	ds_read2st64_b64 v[146:149], v50 offset1:4
	s_waitcnt vmcnt(0) lgkmcnt(0)
	v_mul_f32_e32 v45, v147, v155
	v_fma_f32 v156, v146, v154, -v45
	v_mul_f32_e32 v157, v146, v155
	v_mul_f32_e32 v45, v149, v151
	;; [unrolled: 1-line block ×3, first 2 shown]
	v_fmac_f32_e32 v157, v147, v154
	v_fma_f32 v154, v148, v150, -v45
	v_fmac_f32_e32 v155, v149, v150
	global_load_dwordx2 v[150:151], v69, s[2:3]
	global_load_dwordx2 v[158:159], v89, s[2:3]
	;; [unrolled: 1-line block ×4, first 2 shown]
	ds_read2st64_b64 v[146:149], v50 offset0:8 offset1:12
	s_waitcnt vmcnt(3) lgkmcnt(0)
	v_mul_f32_e32 v45, v147, v151
	v_mul_f32_e32 v165, v146, v151
	v_fma_f32 v164, v146, v150, -v45
	v_fmac_f32_e32 v165, v147, v150
	global_load_dwordx2 v[146:147], v105, s[2:3]
	global_load_dwordx2 v[150:151], v111, s[2:3]
	global_load_dwordx2 v[166:167], v117, s[2:3]
	global_load_dwordx2 v[168:169], v99, s[2:3]
	s_waitcnt vmcnt(3)
	v_mul_f32_e32 v45, v149, v147
	v_mul_f32_e32 v171, v148, v147
	v_fma_f32 v170, v148, v146, -v45
	v_fmac_f32_e32 v171, v149, v146
	ds_read2st64_b64 v[146:149], v50 offset0:16 offset1:20
	s_waitcnt lgkmcnt(0)
	v_mul_f32_e32 v45, v147, v159
	v_fma_f32 v172, v146, v158, -v45
	v_mul_f32_e32 v173, v146, v159
	s_waitcnt vmcnt(2)
	v_mul_f32_e32 v45, v149, v151
	v_mul_f32_e32 v159, v148, v151
	v_fmac_f32_e32 v173, v147, v158
	v_fma_f32 v158, v148, v150, -v45
	v_fmac_f32_e32 v159, v149, v150
	ds_read2st64_b64 v[146:149], v50 offset0:24 offset1:28
	s_waitcnt lgkmcnt(0)
	v_mul_f32_e32 v45, v147, v161
	v_fma_f32 v150, v146, v160, -v45
	v_mul_f32_e32 v151, v146, v161
	s_waitcnt vmcnt(1)
	v_mul_f32_e32 v45, v149, v167
	v_mul_f32_e32 v161, v148, v167
	v_fmac_f32_e32 v151, v147, v160
	v_fma_f32 v160, v148, v166, -v45
	v_fmac_f32_e32 v161, v149, v166
	ds_read2st64_b64 v[146:149], v50 offset0:32 offset1:36
	s_waitcnt lgkmcnt(0)
	v_mul_f32_e32 v45, v147, v163
	v_mul_f32_e32 v167, v146, v163
	v_fma_f32 v166, v146, v162, -v45
	v_fmac_f32_e32 v167, v147, v162
	global_load_dwordx2 v[146:147], v109, s[2:3]
	s_mov_b32 s2, -0.5
	s_mov_b32 s3, s12
	s_waitcnt vmcnt(0)
	v_mul_f32_e32 v45, v149, v147
	v_mul_f32_e32 v163, v148, v147
	v_fma_f32 v162, v148, v146, -v45
	v_fmac_f32_e32 v163, v149, v146
	ds_read2st64_b64 v[146:149], v50 offset0:40 offset1:44
	s_waitcnt lgkmcnt(0)
	v_mul_f32_e32 v45, v147, v169
	v_mul_f32_e32 v175, v146, v169
	v_fma_f32 v174, v146, v168, -v45
	v_fmac_f32_e32 v175, v147, v168
	v_mul_f32_e32 v45, v149, v153
	v_mul_f32_e32 v147, v148, v153
	v_fma_f32 v146, v148, v152, -v45
	v_fmac_f32_e32 v147, v149, v152
	ds_write2st64_b64 v50, v[156:157], v[154:155] offset1:4
	ds_write2st64_b64 v50, v[164:165], v[170:171] offset0:8 offset1:12
	ds_write2st64_b64 v50, v[172:173], v[158:159] offset0:16 offset1:20
	;; [unrolled: 1-line block ×5, first 2 shown]
	s_waitcnt lgkmcnt(0)
	s_barrier
	ds_read2st64_b64 v[146:149], v50 offset0:24 offset1:28
	ds_read2st64_b64 v[150:153], v50 offset0:40 offset1:44
	;; [unrolled: 1-line block ×3, first 2 shown]
	s_waitcnt lgkmcnt(1)
	v_pk_add_f32 v[158:159], v[146:147], v[150:151]
	s_waitcnt lgkmcnt(0)
	v_fma_f32 v170, -0.5, v158, v154
	v_pk_add_f32 v[160:161], v[146:147], v[150:151] neg_lo:[0,1] neg_hi:[0,1]
	v_fma_f32 v174, -0.5, v159, v155
	v_fmamk_f32 v172, v161, 0xbf5db3d7, v170
	v_fmac_f32_e32 v170, 0x3f5db3d7, v161
	v_fmamk_f32 v176, v160, 0x3f5db3d7, v174
	v_fmac_f32_e32 v174, 0xbf5db3d7, v160
	ds_read2st64_b64 v[158:161], v50 offset0:16 offset1:20
	ds_read2st64_b64 v[162:165], v50 offset0:32 offset1:36
	ds_read2st64_b64 v[166:169], v50 offset1:4
	v_pk_mul_f32 v[176:177], v[176:177], s[8:9] op_sel_hi:[0,1]
	v_pk_add_f32 v[146:147], v[154:155], v[146:147]
	s_waitcnt lgkmcnt(0)
	v_pk_add_f32 v[178:179], v[158:159], v[162:163]
	v_pk_add_f32 v[180:181], v[158:159], v[162:163] neg_lo:[0,1] neg_hi:[0,1]
	v_pk_fma_f32 v[178:179], v[178:179], 0.5, v[166:167] op_sel_hi:[1,0,1] neg_lo:[1,0,0] neg_hi:[1,0,0]
	v_pk_mul_f32 v[180:181], v[180:181], s[12:13] op_sel_hi:[1,0]
	v_pk_add_f32 v[158:159], v[166:167], v[158:159]
	v_pk_add_f32 v[182:183], v[178:179], v[180:181] op_sel:[0,1] op_sel_hi:[1,0] neg_lo:[0,1] neg_hi:[0,1]
	v_pk_add_f32 v[180:181], v[178:179], v[180:181] op_sel:[0,1] op_sel_hi:[1,0]
	v_pk_fma_f32 v[178:179], v[172:173], s[14:15], v[176:177] neg_lo:[0,0,1] neg_hi:[0,0,1]
	v_pk_fma_f32 v[172:173], v[172:173], s[14:15], v[176:177] op_sel_hi:[0,1,1]
	v_mov_b32_e32 v179, v173
	v_pk_mul_f32 v[172:173], v[174:175], s[8:9] op_sel_hi:[0,1]
	v_pk_add_f32 v[158:159], v[158:159], v[162:163]
	v_pk_add_f32 v[146:147], v[146:147], v[150:151]
	v_pk_fma_f32 v[184:185], v[170:171], s[2:3], v[172:173] op_sel_hi:[0,1,1] neg_lo:[0,0,1] neg_hi:[0,0,1]
	v_pk_add_f32 v[170:171], v[158:159], v[146:147]
	v_pk_add_f32 v[176:177], v[158:159], v[146:147] neg_lo:[0,1] neg_hi:[0,1]
	v_pk_add_f32 v[146:147], v[168:169], v[160:161]
	v_pk_add_f32 v[150:151], v[160:161], v[164:165]
	v_pk_add_f32 v[154:155], v[160:161], v[164:165] neg_lo:[0,1] neg_hi:[0,1]
	v_pk_add_f32 v[158:159], v[146:147], v[164:165]
	v_pk_add_f32 v[146:147], v[148:149], v[152:153]
	v_pk_add_f32 v[160:161], v[148:149], v[152:153] neg_lo:[0,1] neg_hi:[0,1]
	v_pk_add_f32 v[148:149], v[156:157], v[148:149]
	v_fma_f32 v156, -0.5, v146, v156
	v_pk_add_f32 v[152:153], v[148:149], v[152:153]
	v_fma_f32 v162, -0.5, v147, v157
	v_pk_fma_f32 v[146:147], v[150:151], 0.5, v[168:169] op_sel_hi:[1,0,1] neg_lo:[1,0,0] neg_hi:[1,0,0]
	v_pk_mul_f32 v[148:149], v[154:155], s[12:13] op_sel_hi:[1,0]
	v_mov_b32_e32 v186, v182
	v_pk_add_f32 v[150:151], v[146:147], v[148:149] op_sel:[0,1] op_sel_hi:[1,0] neg_lo:[0,1] neg_hi:[0,1]
	v_pk_add_f32 v[154:155], v[146:147], v[148:149] op_sel:[0,1] op_sel_hi:[1,0]
	v_fmamk_f32 v146, v160, 0x3f5db3d7, v162
	v_pk_mul_f32 v[146:147], v[146:147], s[8:9] op_sel_hi:[0,1]
	v_fmamk_f32 v148, v161, 0xbf5db3d7, v156
	v_pk_fma_f32 v[164:165], v[148:149], s[14:15], v[146:147] neg_lo:[0,0,1] neg_hi:[0,0,1]
	v_pk_fma_f32 v[146:147], v[148:149], s[14:15], v[146:147] op_sel_hi:[0,1,1]
	v_mov_b32_e32 v187, v181
	v_mov_b32_e32 v165, v147
	;; [unrolled: 1-line block ×5, first 2 shown]
	v_pk_add_f32 v[172:173], v[186:187], v[178:179]
	v_pk_add_f32 v[146:147], v[158:159], v[152:153]
	;; [unrolled: 1-line block ×3, first 2 shown]
	v_fmac_f32_e32 v162, 0xbf5db3d7, v160
	v_pk_add_f32 v[174:175], v[180:181], v[184:185]
	v_pk_add_f32 v[178:179], v[186:187], v[178:179] neg_lo:[0,1] neg_hi:[0,1]
	v_pk_add_f32 v[180:181], v[180:181], v[184:185] neg_lo:[0,1] neg_hi:[0,1]
	s_barrier
	ds_write_b128 v115, v[170:173]
	ds_write_b128 v115, v[174:177] offset:16
	ds_write_b128 v115, v[178:181] offset:32
	ds_write_b128 v101, v[146:149]
	v_fmac_f32_e32 v156, 0x3f5db3d7, v161
	v_pk_mul_f32 v[146:147], v[162:163], s[8:9] op_sel_hi:[0,1]
	v_pk_fma_f32 v[156:157], v[156:157], s[2:3], v[146:147] op_sel_hi:[0,1,1] neg_lo:[0,0,1] neg_hi:[0,0,1]
	v_mov_b32_e32 v155, v151
	v_pk_add_f32 v[148:149], v[158:159], v[152:153] neg_lo:[0,1] neg_hi:[0,1]
	v_pk_add_f32 v[146:147], v[154:155], v[156:157]
	ds_write_b128 v101, v[146:149] offset:16
	v_pk_add_f32 v[146:147], v[166:167], v[164:165] neg_lo:[0,1] neg_hi:[0,1]
	v_pk_add_f32 v[148:149], v[154:155], v[156:157] neg_lo:[0,1] neg_hi:[0,1]
	ds_write_b128 v101, v[146:149] offset:32
	s_waitcnt lgkmcnt(0)
	s_barrier
	ds_read2st64_b64 v[146:149], v50 offset0:32 offset1:36
	ds_read2st64_b64 v[150:153], v50 offset0:16 offset1:20
	s_waitcnt lgkmcnt(1)
	v_pk_mul_f32 v[154:155], v[86:87], v[148:149] op_sel:[1,0]
	v_pk_mul_f32 v[94:95], v[94:95], v[146:147] op_sel_hi:[0,1]
	v_pk_fma_f32 v[156:157], v[86:87], v[148:149], v[154:155] op_sel:[0,0,1] op_sel_hi:[1,1,0]
	v_pk_fma_f32 v[86:87], v[86:87], v[148:149], v[154:155] op_sel:[0,0,1] op_sel_hi:[0,1,0] neg_lo:[0,0,1] neg_hi:[0,0,1]
	v_pk_fma_f32 v[154:155], v[8:9], v[146:147], v[94:95] op_sel:[0,0,1] op_sel_hi:[1,1,0]
	v_pk_fma_f32 v[94:95], v[8:9], v[146:147], v[94:95] op_sel:[0,0,1] op_sel_hi:[0,1,0] neg_lo:[0,0,1] neg_hi:[0,0,1]
	s_waitcnt lgkmcnt(0)
	v_mov_b32_e32 v8, v153
	v_pk_mul_f32 v[146:147], v[6:7], v[152:153] op_sel_hi:[1,0]
	v_mov_b32_e32 v157, v87
	v_pk_fma_f32 v[158:159], v[6:7], v[8:9], v[146:147] op_sel:[0,0,1] op_sel_hi:[1,1,0] neg_lo:[0,0,1] neg_hi:[0,0,1]
	v_pk_fma_f32 v[152:153], v[6:7], v[152:153], v[146:147] op_sel:[0,1,1] op_sel_hi:[1,1,0]
	v_mov_b32_e32 v6, v151
	v_pk_mul_f32 v[146:147], v[2:3], v[150:151] op_sel_hi:[1,0]
	v_mov_b32_e32 v159, v153
	v_pk_fma_f32 v[150:151], v[2:3], v[150:151], v[146:147] op_sel:[0,1,1] op_sel_hi:[1,1,0]
	v_pk_fma_f32 v[160:161], v[2:3], v[6:7], v[146:147] op_sel:[0,0,1] op_sel_hi:[1,1,0] neg_lo:[0,0,1] neg_hi:[0,0,1]
	ds_read2st64_b64 v[146:149], v50 offset0:24 offset1:28
	v_mov_b32_e32 v161, v151
	v_mov_b32_e32 v155, v95
	s_waitcnt lgkmcnt(0)
	v_pk_mul_f32 v[2:3], v[88:89], v[148:149] op_sel_hi:[0,1]
	v_pk_fma_f32 v[88:89], v[4:5], v[148:149], v[2:3] op_sel:[0,0,1] op_sel_hi:[1,1,0]
	v_pk_fma_f32 v[148:149], v[4:5], v[148:149], v[2:3] op_sel:[0,0,1] op_sel_hi:[0,1,0] neg_lo:[0,0,1] neg_hi:[0,0,1]
	v_pk_mul_f32 v[2:3], v[90:91], v[146:147] op_sel_hi:[0,1]
	v_pk_fma_f32 v[90:91], v[12:13], v[146:147], v[2:3] op_sel:[0,0,1] op_sel_hi:[1,1,0]
	v_pk_fma_f32 v[6:7], v[12:13], v[146:147], v[2:3] op_sel:[0,0,1] op_sel_hi:[0,1,0] neg_lo:[0,0,1] neg_hi:[0,0,1]
	ds_read2st64_b64 v[2:5], v50 offset0:8 offset1:12
	v_mov_b32_e32 v91, v7
	v_mov_b32_e32 v89, v149
	s_waitcnt lgkmcnt(0)
	v_pk_mul_f32 v[12:13], v[10:11], v[4:5] op_sel:[1,0]
	s_nop 0
	v_pk_fma_f32 v[146:147], v[10:11], v[4:5], v[12:13] op_sel:[0,0,1] op_sel_hi:[1,1,0]
	v_pk_fma_f32 v[4:5], v[10:11], v[4:5], v[12:13] op_sel:[0,0,1] op_sel_hi:[0,1,0] neg_lo:[0,0,1] neg_hi:[0,0,1]
	v_mov_b32_e32 v147, v5
	ds_read2st64_b64 v[4:7], v50 offset1:4
	v_pk_add_f32 v[10:11], v[146:147], v[156:157] neg_lo:[0,1] neg_hi:[0,1]
	s_waitcnt lgkmcnt(0)
	v_pk_add_f32 v[86:87], v[4:5], v[90:91] neg_lo:[0,1] neg_hi:[0,1]
	v_pk_fma_f32 v[12:13], v[146:147], 2.0, v[10:11] op_sel_hi:[1,0,1] neg_lo:[0,0,1] neg_hi:[0,0,1]
	v_pk_add_f32 v[90:91], v[86:87], v[10:11] op_sel:[0,1] op_sel_hi:[1,0]
	v_pk_add_f32 v[10:11], v[86:87], v[10:11] op_sel:[0,1] op_sel_hi:[1,0] neg_lo:[0,1] neg_hi:[0,1]
	v_pk_fma_f32 v[4:5], v[4:5], 2.0, v[86:87] op_sel_hi:[1,0,1] neg_lo:[0,0,1] neg_hi:[0,0,1]
	v_mov_b32_e32 v91, v11
	v_pk_add_f32 v[146:147], v[4:5], v[12:13] neg_lo:[0,1] neg_hi:[0,1]
	ds_read2st64_b64 v[10:13], v50 offset0:40 offset1:44
	v_pk_fma_f32 v[4:5], v[4:5], 2.0, v[146:147] op_sel_hi:[1,0,1] neg_lo:[0,0,1] neg_hi:[0,0,1]
	v_pk_fma_f32 v[86:87], v[86:87], 2.0, v[90:91] op_sel_hi:[1,0,1] neg_lo:[0,0,1] neg_hi:[0,0,1]
	s_waitcnt lgkmcnt(0)
	s_barrier
	ds_write2_b64 v9, v[4:5], v[86:87] offset1:6
	ds_write2_b64 v9, v[146:147], v[90:91] offset0:12 offset1:18
	v_mov_b32_e32 v4, v11
	v_pk_mul_f32 v[8:9], v[80:81], v[10:11] op_sel_hi:[1,0]
	s_nop 0
	v_pk_fma_f32 v[4:5], v[80:81], v[4:5], v[8:9] op_sel:[0,0,1] op_sel_hi:[1,1,0] neg_lo:[0,0,1] neg_hi:[0,0,1]
	v_pk_fma_f32 v[8:9], v[80:81], v[10:11], v[8:9] op_sel:[0,1,1] op_sel_hi:[1,1,0]
	s_nop 0
	v_mov_b32_e32 v5, v9
	v_pk_add_f32 v[8:9], v[6:7], v[88:89] neg_lo:[0,1] neg_hi:[0,1]
	v_pk_add_f32 v[4:5], v[160:161], v[4:5] neg_lo:[0,1] neg_hi:[0,1]
	v_pk_fma_f32 v[6:7], v[6:7], 2.0, v[8:9] op_sel_hi:[1,0,1] neg_lo:[0,0,1] neg_hi:[0,0,1]
	v_pk_add_f32 v[10:11], v[8:9], v[4:5]
	v_pk_add_f32 v[80:81], v[8:9], v[4:5] neg_lo:[0,1] neg_hi:[0,1]
	v_pk_fma_f32 v[4:5], v[160:161], 2.0, v[4:5] op_sel_hi:[1,0,1] neg_lo:[0,0,1] neg_hi:[0,0,1]
	v_mov_b32_e32 v11, v81
	v_pk_add_f32 v[4:5], v[6:7], v[4:5] op_sel:[0,1] op_sel_hi:[1,0] neg_lo:[0,1] neg_hi:[0,1]
	v_pk_fma_f32 v[8:9], v[8:9], 2.0, v[10:11] op_sel_hi:[1,0,1] neg_lo:[0,0,1] neg_hi:[0,0,1]
	v_pk_fma_f32 v[6:7], v[6:7], 2.0, v[4:5] op_sel_hi:[1,0,1] neg_lo:[0,0,1] neg_hi:[0,0,1]
	ds_write2_b64 v138, v[6:7], v[8:9] offset1:6
	ds_write2_b64 v138, v[4:5], v[10:11] offset0:12 offset1:18
	v_mov_b32_e32 v4, v13
	v_pk_mul_f32 v[6:7], v[78:79], v[12:13] op_sel_hi:[1,0]
	s_nop 0
	v_pk_fma_f32 v[8:9], v[78:79], v[12:13], v[6:7] op_sel:[0,1,1] op_sel_hi:[1,1,0]
	v_pk_fma_f32 v[4:5], v[78:79], v[4:5], v[6:7] op_sel:[0,0,1] op_sel_hi:[1,1,0] neg_lo:[0,0,1] neg_hi:[0,0,1]
	v_pk_add_f32 v[6:7], v[2:3], v[154:155] neg_lo:[0,1] neg_hi:[0,1]
	v_mov_b32_e32 v5, v9
	v_pk_add_f32 v[4:5], v[158:159], v[4:5] neg_lo:[0,1] neg_hi:[0,1]
	v_pk_fma_f32 v[2:3], v[2:3], 2.0, v[6:7] op_sel_hi:[1,0,1] neg_lo:[0,0,1] neg_hi:[0,0,1]
	v_pk_add_f32 v[8:9], v[6:7], v[4:5]
	v_pk_add_f32 v[10:11], v[6:7], v[4:5] neg_lo:[0,1] neg_hi:[0,1]
	v_pk_fma_f32 v[4:5], v[158:159], 2.0, v[4:5] op_sel_hi:[1,0,1] neg_lo:[0,0,1] neg_hi:[0,0,1]
	v_mov_b32_e32 v9, v11
	v_pk_add_f32 v[4:5], v[2:3], v[4:5] op_sel:[0,1] op_sel_hi:[1,0] neg_lo:[0,1] neg_hi:[0,1]
	v_pk_fma_f32 v[6:7], v[6:7], 2.0, v[8:9] op_sel_hi:[1,0,1] neg_lo:[0,0,1] neg_hi:[0,0,1]
	v_pk_fma_f32 v[2:3], v[2:3], 2.0, v[4:5] op_sel_hi:[1,0,1] neg_lo:[0,0,1] neg_hi:[0,0,1]
	ds_write2_b64 v123, v[2:3], v[6:7] offset1:6
	ds_write2_b64 v123, v[4:5], v[8:9] offset0:12 offset1:18
	s_waitcnt lgkmcnt(0)
	s_barrier
	ds_read2st64_b64 v[2:5], v50 offset0:32 offset1:36
	ds_read2st64_b64 v[6:9], v50 offset0:16 offset1:20
	s_waitcnt lgkmcnt(1)
	v_pk_mul_f32 v[10:11], v[102:103], v[4:5] op_sel:[1,0]
	s_nop 0
	v_pk_fma_f32 v[12:13], v[102:103], v[4:5], v[10:11] op_sel:[0,0,1] op_sel_hi:[1,1,0]
	v_pk_fma_f32 v[10:11], v[102:103], v[4:5], v[10:11] op_sel:[0,0,1] op_sel_hi:[0,1,0] neg_lo:[0,0,1] neg_hi:[0,0,1]
	v_pk_mul_f32 v[4:5], v[104:105], v[2:3] op_sel_hi:[0,1]
	v_pk_fma_f32 v[78:79], v[16:17], v[2:3], v[4:5] op_sel:[0,0,1] op_sel_hi:[1,1,0]
	v_pk_fma_f32 v[80:81], v[16:17], v[2:3], v[4:5] op_sel:[0,0,1] op_sel_hi:[0,1,0] neg_lo:[0,0,1] neg_hi:[0,0,1]
	s_waitcnt lgkmcnt(0)
	v_mov_b32_e32 v2, v9
	v_pk_mul_f32 v[4:5], v[14:15], v[8:9] op_sel_hi:[1,0]
	v_pk_mul_f32 v[88:89], v[18:19], v[6:7] op_sel_hi:[1,0]
	v_pk_fma_f32 v[86:87], v[14:15], v[2:3], v[4:5] op_sel:[0,0,1] op_sel_hi:[1,1,0] neg_lo:[0,0,1] neg_hi:[0,0,1]
	v_pk_fma_f32 v[14:15], v[14:15], v[8:9], v[4:5] op_sel:[0,1,1] op_sel_hi:[1,1,0]
	ds_read2st64_b64 v[2:5], v50 offset0:24 offset1:28
	v_mov_b32_e32 v8, v7
	v_pk_fma_f32 v[90:91], v[18:19], v[6:7], v[88:89] op_sel:[0,1,1] op_sel_hi:[1,1,0]
	v_pk_fma_f32 v[18:19], v[18:19], v[8:9], v[88:89] op_sel:[0,0,1] op_sel_hi:[1,1,0] neg_lo:[0,0,1] neg_hi:[0,0,1]
	ds_read2st64_b64 v[6:9], v50 offset0:8 offset1:12
	s_waitcnt lgkmcnt(1)
	v_pk_mul_f32 v[88:89], v[100:101], v[4:5] op_sel_hi:[0,1]
	v_pk_fma_f32 v[94:95], v[20:21], v[4:5], v[88:89] op_sel:[0,0,1] op_sel_hi:[1,1,0]
	v_pk_fma_f32 v[20:21], v[20:21], v[4:5], v[88:89] op_sel:[0,0,1] op_sel_hi:[0,1,0] neg_lo:[0,0,1] neg_hi:[0,0,1]
	v_pk_mul_f32 v[4:5], v[98:99], v[2:3] op_sel_hi:[0,1]
	v_pk_fma_f32 v[88:89], v[24:25], v[2:3], v[4:5] op_sel:[0,0,1] op_sel_hi:[1,1,0]
	v_pk_fma_f32 v[24:25], v[24:25], v[2:3], v[4:5] op_sel:[0,0,1] op_sel_hi:[0,1,0] neg_lo:[0,0,1] neg_hi:[0,0,1]
	ds_read2st64_b64 v[2:5], v50 offset1:4
	s_waitcnt lgkmcnt(1)
	v_pk_mul_f32 v[98:99], v[22:23], v[8:9] op_sel:[1,0]
	v_mov_b32_e32 v89, v25
	v_pk_fma_f32 v[100:101], v[22:23], v[8:9], v[98:99] op_sel:[0,0,1] op_sel_hi:[1,1,0]
	v_pk_fma_f32 v[8:9], v[22:23], v[8:9], v[98:99] op_sel:[0,0,1] op_sel_hi:[0,1,0] neg_lo:[0,0,1] neg_hi:[0,0,1]
	v_mov_b32_e32 v101, v9
	v_mov_b32_e32 v13, v11
	s_waitcnt lgkmcnt(0)
	v_pk_add_f32 v[22:23], v[2:3], v[88:89] neg_lo:[0,1] neg_hi:[0,1]
	v_pk_add_f32 v[8:9], v[100:101], v[12:13] neg_lo:[0,1] neg_hi:[0,1]
	v_pk_fma_f32 v[2:3], v[2:3], 2.0, v[22:23] op_sel_hi:[1,0,1] neg_lo:[0,0,1] neg_hi:[0,0,1]
	v_pk_fma_f32 v[10:11], v[100:101], 2.0, v[8:9] op_sel_hi:[1,0,1] neg_lo:[0,0,1] neg_hi:[0,0,1]
	v_pk_add_f32 v[12:13], v[22:23], v[8:9] op_sel:[0,1] op_sel_hi:[1,0]
	v_pk_add_f32 v[8:9], v[22:23], v[8:9] op_sel:[0,1] op_sel_hi:[1,0] neg_lo:[0,1] neg_hi:[0,1]
	v_pk_add_f32 v[24:25], v[2:3], v[10:11] neg_lo:[0,1] neg_hi:[0,1]
	v_mov_b32_e32 v13, v9
	ds_read2st64_b64 v[8:11], v50 offset0:40 offset1:44
	v_pk_fma_f32 v[2:3], v[2:3], 2.0, v[24:25] op_sel_hi:[1,0,1] neg_lo:[0,0,1] neg_hi:[0,0,1]
	v_pk_fma_f32 v[22:23], v[22:23], 2.0, v[12:13] op_sel_hi:[1,0,1] neg_lo:[0,0,1] neg_hi:[0,0,1]
	s_waitcnt lgkmcnt(0)
	s_barrier
	ds_write2_b64 v17, v[2:3], v[22:23] offset1:24
	ds_write2_b64 v17, v[24:25], v[12:13] offset0:48 offset1:72
	v_mov_b32_e32 v2, v9
	v_pk_mul_f32 v[12:13], v[84:85], v[8:9] op_sel_hi:[1,0]
	v_mov_b32_e32 v19, v91
	v_pk_fma_f32 v[2:3], v[84:85], v[2:3], v[12:13] op_sel:[0,0,1] op_sel_hi:[1,1,0] neg_lo:[0,0,1] neg_hi:[0,0,1]
	v_pk_fma_f32 v[8:9], v[84:85], v[8:9], v[12:13] op_sel:[0,1,1] op_sel_hi:[1,1,0]
	v_mov_b32_e32 v95, v21
	v_mov_b32_e32 v3, v9
	v_pk_add_f32 v[8:9], v[4:5], v[94:95] neg_lo:[0,1] neg_hi:[0,1]
	v_pk_add_f32 v[2:3], v[18:19], v[2:3] neg_lo:[0,1] neg_hi:[0,1]
	v_pk_fma_f32 v[4:5], v[4:5], 2.0, v[8:9] op_sel_hi:[1,0,1] neg_lo:[0,0,1] neg_hi:[0,0,1]
	v_pk_add_f32 v[12:13], v[8:9], v[2:3]
	v_pk_add_f32 v[16:17], v[8:9], v[2:3] neg_lo:[0,1] neg_hi:[0,1]
	v_pk_fma_f32 v[2:3], v[18:19], 2.0, v[2:3] op_sel_hi:[1,0,1] neg_lo:[0,0,1] neg_hi:[0,0,1]
	v_mov_b32_e32 v13, v17
	v_pk_add_f32 v[2:3], v[4:5], v[2:3] op_sel:[0,1] op_sel_hi:[1,0] neg_lo:[0,1] neg_hi:[0,1]
	v_pk_fma_f32 v[8:9], v[8:9], 2.0, v[12:13] op_sel_hi:[1,0,1] neg_lo:[0,0,1] neg_hi:[0,0,1]
	v_pk_fma_f32 v[4:5], v[4:5], 2.0, v[2:3] op_sel_hi:[1,0,1] neg_lo:[0,0,1] neg_hi:[0,0,1]
	ds_write2_b64 v140, v[4:5], v[8:9] offset1:24
	ds_write2_b64 v140, v[2:3], v[12:13] offset0:48 offset1:72
	v_mov_b32_e32 v2, v11
	v_pk_mul_f32 v[4:5], v[82:83], v[10:11] op_sel_hi:[1,0]
	v_mov_b32_e32 v87, v15
	v_pk_fma_f32 v[8:9], v[82:83], v[10:11], v[4:5] op_sel:[0,1,1] op_sel_hi:[1,1,0]
	v_pk_fma_f32 v[2:3], v[82:83], v[2:3], v[4:5] op_sel:[0,0,1] op_sel_hi:[1,1,0] neg_lo:[0,0,1] neg_hi:[0,0,1]
	v_mov_b32_e32 v79, v81
	v_mov_b32_e32 v3, v9
	v_pk_add_f32 v[4:5], v[6:7], v[78:79] neg_lo:[0,1] neg_hi:[0,1]
	v_pk_add_f32 v[2:3], v[86:87], v[2:3] neg_lo:[0,1] neg_hi:[0,1]
	v_pk_fma_f32 v[6:7], v[6:7], 2.0, v[4:5] op_sel_hi:[1,0,1] neg_lo:[0,0,1] neg_hi:[0,0,1]
	v_pk_add_f32 v[8:9], v[4:5], v[2:3]
	v_pk_add_f32 v[10:11], v[4:5], v[2:3] neg_lo:[0,1] neg_hi:[0,1]
	v_pk_fma_f32 v[2:3], v[86:87], 2.0, v[2:3] op_sel_hi:[1,0,1] neg_lo:[0,0,1] neg_hi:[0,0,1]
	v_mov_b32_e32 v9, v11
	v_pk_add_f32 v[2:3], v[6:7], v[2:3] op_sel:[0,1] op_sel_hi:[1,0] neg_lo:[0,1] neg_hi:[0,1]
	v_pk_fma_f32 v[4:5], v[4:5], 2.0, v[8:9] op_sel_hi:[1,0,1] neg_lo:[0,0,1] neg_hi:[0,0,1]
	v_pk_fma_f32 v[6:7], v[6:7], 2.0, v[2:3] op_sel_hi:[1,0,1] neg_lo:[0,0,1] neg_hi:[0,0,1]
	ds_write2_b64 v139, v[6:7], v[4:5] offset1:24
	ds_write2_b64 v139, v[2:3], v[8:9] offset0:48 offset1:72
	s_waitcnt lgkmcnt(0)
	s_barrier
	ds_read2st64_b64 v[2:5], v50 offset0:32 offset1:36
	ds_read2st64_b64 v[6:9], v50 offset0:16 offset1:20
	s_waitcnt lgkmcnt(1)
	v_pk_mul_f32 v[10:11], v[112:113], v[4:5] op_sel:[1,0]
	s_nop 0
	v_pk_fma_f32 v[12:13], v[112:113], v[4:5], v[10:11] op_sel:[0,0,1] op_sel_hi:[1,1,0]
	v_pk_fma_f32 v[10:11], v[112:113], v[4:5], v[10:11] op_sel:[0,0,1] op_sel_hi:[0,1,0] neg_lo:[0,0,1] neg_hi:[0,0,1]
	v_pk_mul_f32 v[4:5], v[114:115], v[2:3] op_sel_hi:[0,1]
	v_pk_fma_f32 v[14:15], v[32:33], v[2:3], v[4:5] op_sel:[0,0,1] op_sel_hi:[1,1,0]
	v_pk_fma_f32 v[16:17], v[32:33], v[2:3], v[4:5] op_sel:[0,0,1] op_sel_hi:[0,1,0] neg_lo:[0,0,1] neg_hi:[0,0,1]
	s_waitcnt lgkmcnt(0)
	v_mov_b32_e32 v2, v9
	v_pk_mul_f32 v[4:5], v[30:31], v[8:9] op_sel_hi:[1,0]
	v_pk_mul_f32 v[22:23], v[26:27], v[6:7] op_sel_hi:[1,0]
	v_pk_fma_f32 v[18:19], v[30:31], v[2:3], v[4:5] op_sel:[0,0,1] op_sel_hi:[1,1,0] neg_lo:[0,0,1] neg_hi:[0,0,1]
	v_pk_fma_f32 v[20:21], v[30:31], v[8:9], v[4:5] op_sel:[0,1,1] op_sel_hi:[1,1,0]
	ds_read2st64_b64 v[2:5], v50 offset0:24 offset1:28
	v_mov_b32_e32 v8, v7
	v_pk_fma_f32 v[24:25], v[26:27], v[6:7], v[22:23] op_sel:[0,1,1] op_sel_hi:[1,1,0]
	v_pk_fma_f32 v[22:23], v[26:27], v[8:9], v[22:23] op_sel:[0,0,1] op_sel_hi:[1,1,0] neg_lo:[0,0,1] neg_hi:[0,0,1]
	ds_read2st64_b64 v[6:9], v50 offset0:8 offset1:12
	s_waitcnt lgkmcnt(1)
	v_pk_mul_f32 v[26:27], v[110:111], v[4:5] op_sel_hi:[0,1]
	v_pk_fma_f32 v[30:31], v[28:29], v[4:5], v[26:27] op_sel:[0,0,1] op_sel_hi:[1,1,0]
	v_pk_fma_f32 v[26:27], v[28:29], v[4:5], v[26:27] op_sel:[0,0,1] op_sel_hi:[0,1,0] neg_lo:[0,0,1] neg_hi:[0,0,1]
	v_pk_mul_f32 v[4:5], v[108:109], v[2:3] op_sel_hi:[0,1]
	v_pk_fma_f32 v[28:29], v[36:37], v[2:3], v[4:5] op_sel:[0,0,1] op_sel_hi:[1,1,0]
	v_pk_fma_f32 v[36:37], v[36:37], v[2:3], v[4:5] op_sel:[0,0,1] op_sel_hi:[0,1,0] neg_lo:[0,0,1] neg_hi:[0,0,1]
	ds_read2st64_b64 v[2:5], v50 offset1:4
	s_waitcnt lgkmcnt(1)
	v_pk_mul_f32 v[78:79], v[34:35], v[8:9] op_sel:[1,0]
	v_mov_b32_e32 v29, v37
	v_pk_fma_f32 v[80:81], v[34:35], v[8:9], v[78:79] op_sel:[0,0,1] op_sel_hi:[1,1,0]
	v_pk_fma_f32 v[8:9], v[34:35], v[8:9], v[78:79] op_sel:[0,0,1] op_sel_hi:[0,1,0] neg_lo:[0,0,1] neg_hi:[0,0,1]
	v_mov_b32_e32 v81, v9
	v_mov_b32_e32 v13, v11
	s_waitcnt lgkmcnt(0)
	v_pk_add_f32 v[28:29], v[2:3], v[28:29] neg_lo:[0,1] neg_hi:[0,1]
	v_pk_add_f32 v[8:9], v[80:81], v[12:13] neg_lo:[0,1] neg_hi:[0,1]
	v_pk_fma_f32 v[2:3], v[2:3], 2.0, v[28:29] op_sel_hi:[1,0,1] neg_lo:[0,0,1] neg_hi:[0,0,1]
	v_pk_fma_f32 v[10:11], v[80:81], 2.0, v[8:9] op_sel_hi:[1,0,1] neg_lo:[0,0,1] neg_hi:[0,0,1]
	v_pk_add_f32 v[12:13], v[28:29], v[8:9] op_sel:[0,1] op_sel_hi:[1,0]
	v_pk_add_f32 v[8:9], v[28:29], v[8:9] op_sel:[0,1] op_sel_hi:[1,0] neg_lo:[0,1] neg_hi:[0,1]
	v_pk_add_f32 v[34:35], v[2:3], v[10:11] neg_lo:[0,1] neg_hi:[0,1]
	v_mov_b32_e32 v13, v9
	ds_read2st64_b64 v[8:11], v50 offset0:40 offset1:44
	v_pk_fma_f32 v[2:3], v[2:3], 2.0, v[34:35] op_sel_hi:[1,0,1] neg_lo:[0,0,1] neg_hi:[0,0,1]
	v_pk_fma_f32 v[28:29], v[28:29], 2.0, v[12:13] op_sel_hi:[1,0,1] neg_lo:[0,0,1] neg_hi:[0,0,1]
	s_waitcnt lgkmcnt(0)
	s_barrier
	ds_write2_b64 v33, v[2:3], v[28:29] offset1:96
	ds_write2_b64 v143, v[34:35], v[12:13] offset0:64 offset1:160
	v_mov_b32_e32 v2, v9
	v_pk_mul_f32 v[12:13], v[96:97], v[8:9] op_sel_hi:[1,0]
	v_mov_b32_e32 v23, v25
	v_pk_fma_f32 v[2:3], v[96:97], v[2:3], v[12:13] op_sel:[0,0,1] op_sel_hi:[1,1,0] neg_lo:[0,0,1] neg_hi:[0,0,1]
	v_pk_fma_f32 v[8:9], v[96:97], v[8:9], v[12:13] op_sel:[0,1,1] op_sel_hi:[1,1,0]
	v_mov_b32_e32 v31, v27
	v_mov_b32_e32 v3, v9
	v_pk_add_f32 v[8:9], v[4:5], v[30:31] neg_lo:[0,1] neg_hi:[0,1]
	v_pk_add_f32 v[2:3], v[22:23], v[2:3] neg_lo:[0,1] neg_hi:[0,1]
	v_pk_fma_f32 v[4:5], v[4:5], 2.0, v[8:9] op_sel_hi:[1,0,1] neg_lo:[0,0,1] neg_hi:[0,0,1]
	v_pk_add_f32 v[12:13], v[8:9], v[2:3]
	v_pk_add_f32 v[24:25], v[8:9], v[2:3] neg_lo:[0,1] neg_hi:[0,1]
	v_pk_fma_f32 v[2:3], v[22:23], 2.0, v[2:3] op_sel_hi:[1,0,1] neg_lo:[0,0,1] neg_hi:[0,0,1]
	v_mov_b32_e32 v13, v25
	v_pk_add_f32 v[2:3], v[4:5], v[2:3] op_sel:[0,1] op_sel_hi:[1,0] neg_lo:[0,1] neg_hi:[0,1]
	v_pk_fma_f32 v[8:9], v[8:9], 2.0, v[12:13] op_sel_hi:[1,0,1] neg_lo:[0,0,1] neg_hi:[0,0,1]
	v_pk_fma_f32 v[4:5], v[4:5], 2.0, v[2:3] op_sel_hi:[1,0,1] neg_lo:[0,0,1] neg_hi:[0,0,1]
	ds_write2_b64 v141, v[4:5], v[8:9] offset1:96
	ds_write2_b64 v144, v[2:3], v[12:13] offset0:64 offset1:160
	v_mov_b32_e32 v2, v11
	v_pk_mul_f32 v[4:5], v[92:93], v[10:11] op_sel_hi:[1,0]
	v_mov_b32_e32 v19, v21
	v_pk_fma_f32 v[8:9], v[92:93], v[10:11], v[4:5] op_sel:[0,1,1] op_sel_hi:[1,1,0]
	v_pk_fma_f32 v[2:3], v[92:93], v[2:3], v[4:5] op_sel:[0,0,1] op_sel_hi:[1,1,0] neg_lo:[0,0,1] neg_hi:[0,0,1]
	v_mov_b32_e32 v15, v17
	v_mov_b32_e32 v3, v9
	v_pk_add_f32 v[4:5], v[6:7], v[14:15] neg_lo:[0,1] neg_hi:[0,1]
	v_pk_add_f32 v[2:3], v[18:19], v[2:3] neg_lo:[0,1] neg_hi:[0,1]
	v_pk_fma_f32 v[6:7], v[6:7], 2.0, v[4:5] op_sel_hi:[1,0,1] neg_lo:[0,0,1] neg_hi:[0,0,1]
	v_pk_add_f32 v[8:9], v[4:5], v[2:3]
	v_pk_add_f32 v[10:11], v[4:5], v[2:3] neg_lo:[0,1] neg_hi:[0,1]
	v_pk_fma_f32 v[2:3], v[18:19], 2.0, v[2:3] op_sel_hi:[1,0,1] neg_lo:[0,0,1] neg_hi:[0,0,1]
	v_mov_b32_e32 v9, v11
	v_pk_add_f32 v[2:3], v[6:7], v[2:3] op_sel:[0,1] op_sel_hi:[1,0] neg_lo:[0,1] neg_hi:[0,1]
	v_pk_fma_f32 v[4:5], v[4:5], 2.0, v[8:9] op_sel_hi:[1,0,1] neg_lo:[0,0,1] neg_hi:[0,0,1]
	v_pk_fma_f32 v[6:7], v[6:7], 2.0, v[2:3] op_sel_hi:[1,0,1] neg_lo:[0,0,1] neg_hi:[0,0,1]
	ds_write2_b64 v142, v[6:7], v[4:5] offset1:96
	ds_write2_b64 v145, v[2:3], v[8:9] offset0:64 offset1:160
	s_waitcnt lgkmcnt(0)
	s_barrier
	ds_read2st64_b64 v[2:5], v50 offset0:40 offset1:44
	ds_read2st64_b64 v[6:9], v50 offset0:32 offset1:36
	s_waitcnt lgkmcnt(1)
	v_pk_mul_f32 v[10:11], v[120:121], v[4:5] op_sel:[1,0]
	s_nop 0
	v_pk_fma_f32 v[12:13], v[120:121], v[4:5], v[10:11] op_sel:[0,0,1] op_sel_hi:[1,1,0]
	v_pk_fma_f32 v[10:11], v[120:121], v[4:5], v[10:11] op_sel:[0,0,1] op_sel_hi:[0,1,0] neg_lo:[0,0,1] neg_hi:[0,0,1]
	v_pk_mul_f32 v[4:5], v[124:125], v[2:3] op_sel:[1,0]
	s_waitcnt lgkmcnt(0)
	v_pk_mul_f32 v[18:19], v[106:107], v[8:9] op_sel:[1,0]
	v_pk_fma_f32 v[14:15], v[124:125], v[2:3], v[4:5] op_sel:[0,0,1] op_sel_hi:[1,1,0]
	v_pk_fma_f32 v[16:17], v[124:125], v[2:3], v[4:5] op_sel:[0,0,1] op_sel_hi:[0,1,0] neg_lo:[0,0,1] neg_hi:[0,0,1]
	ds_read2st64_b64 v[2:5], v50 offset0:16 offset1:20
	v_pk_fma_f32 v[20:21], v[106:107], v[8:9], v[18:19] op_sel:[0,0,1] op_sel_hi:[1,1,0]
	v_pk_fma_f32 v[18:19], v[106:107], v[8:9], v[18:19] op_sel:[0,0,1] op_sel_hi:[0,1,0] neg_lo:[0,0,1] neg_hi:[0,0,1]
	v_pk_mul_f32 v[8:9], v[116:117], v[6:7] op_sel_hi:[0,1]
	v_pk_fma_f32 v[22:23], v[40:41], v[6:7], v[8:9] op_sel:[0,0,1] op_sel_hi:[1,1,0]
	v_pk_fma_f32 v[24:25], v[40:41], v[6:7], v[8:9] op_sel:[0,0,1] op_sel_hi:[0,1,0] neg_lo:[0,0,1] neg_hi:[0,0,1]
	s_waitcnt lgkmcnt(0)
	v_pk_mul_f32 v[26:27], v[38:39], v[4:5] op_sel:[1,0]
	ds_read2st64_b64 v[6:9], v50 offset0:24 offset1:28
	v_pk_fma_f32 v[28:29], v[38:39], v[4:5], v[26:27] op_sel:[0,0,1] op_sel_hi:[1,1,0]
	v_pk_fma_f32 v[26:27], v[38:39], v[4:5], v[26:27] op_sel:[0,0,1] op_sel_hi:[0,1,0] neg_lo:[0,0,1] neg_hi:[0,0,1]
	v_pk_mul_f32 v[4:5], v[46:47], v[2:3] op_sel:[1,0]
	v_mov_b32_e32 v23, v25
	v_pk_fma_f32 v[30:31], v[46:47], v[2:3], v[4:5] op_sel:[0,0,1] op_sel_hi:[1,1,0]
	v_pk_fma_f32 v[32:33], v[46:47], v[2:3], v[4:5] op_sel:[0,0,1] op_sel_hi:[0,1,0] neg_lo:[0,0,1] neg_hi:[0,0,1]
	ds_read2st64_b64 v[2:5], v50 offset0:8 offset1:12
	s_waitcnt lgkmcnt(1)
	v_pk_mul_f32 v[34:35], v[122:123], v[8:9] op_sel_hi:[0,1]
	v_pk_fma_f32 v[36:37], v[48:49], v[8:9], v[34:35] op_sel:[0,0,1] op_sel_hi:[1,1,0]
	v_pk_fma_f32 v[8:9], v[48:49], v[8:9], v[34:35] op_sel:[0,0,1] op_sel_hi:[0,1,0] neg_lo:[0,0,1] neg_hi:[0,0,1]
	v_pk_mul_f32 v[34:35], v[118:119], v[6:7] op_sel_hi:[0,1]
	v_pk_fma_f32 v[38:39], v[44:45], v[6:7], v[34:35] op_sel:[0,0,1] op_sel_hi:[1,1,0]
	v_pk_fma_f32 v[6:7], v[44:45], v[6:7], v[34:35] op_sel:[0,0,1] op_sel_hi:[0,1,0] neg_lo:[0,0,1] neg_hi:[0,0,1]
	s_waitcnt lgkmcnt(0)
	v_pk_mul_f32 v[34:35], v[42:43], v[4:5] op_sel:[1,0]
	v_mov_b32_e32 v13, v11
	v_pk_add_f32 v[10:11], v[2:3], v[22:23] neg_lo:[0,1] neg_hi:[0,1]
	v_pk_fma_f32 v[44:45], v[42:43], v[4:5], v[34:35] op_sel:[0,0,1] op_sel_hi:[1,1,0]
	v_pk_fma_f32 v[34:35], v[42:43], v[4:5], v[34:35] op_sel:[0,0,1] op_sel_hi:[0,1,0] neg_lo:[0,0,1] neg_hi:[0,0,1]
	v_pk_fma_f32 v[22:23], v[2:3], 2.0, v[10:11] op_sel_hi:[1,0,1] neg_lo:[0,0,1] neg_hi:[0,0,1]
	ds_read2st64_b64 v[2:5], v50 offset1:4
	v_mov_b32_e32 v45, v35
	v_mov_b32_e32 v39, v7
	;; [unrolled: 1-line block ×3, first 2 shown]
	v_pk_add_f32 v[18:19], v[44:45], v[20:21] neg_lo:[0,1] neg_hi:[0,1]
	s_waitcnt lgkmcnt(0)
	v_pk_add_f32 v[6:7], v[2:3], v[38:39] neg_lo:[0,1] neg_hi:[0,1]
	v_pk_fma_f32 v[20:21], v[44:45], 2.0, v[18:19] op_sel_hi:[1,0,1] neg_lo:[0,0,1] neg_hi:[0,0,1]
	v_pk_add_f32 v[24:25], v[6:7], v[18:19] op_sel:[0,1] op_sel_hi:[1,0]
	v_pk_add_f32 v[18:19], v[6:7], v[18:19] op_sel:[0,1] op_sel_hi:[1,0] neg_lo:[0,1] neg_hi:[0,1]
	v_pk_fma_f32 v[2:3], v[2:3], 2.0, v[6:7] op_sel_hi:[1,0,1] neg_lo:[0,0,1] neg_hi:[0,0,1]
	v_mov_b32_e32 v25, v19
	v_mov_b32_e32 v31, v33
	v_pk_add_f32 v[20:21], v[2:3], v[20:21] neg_lo:[0,1] neg_hi:[0,1]
	v_mov_b32_e32 v37, v9
	v_mov_b32_e32 v15, v17
	v_pk_fma_f32 v[2:3], v[2:3], 2.0, v[20:21] op_sel_hi:[1,0,1] neg_lo:[0,0,1] neg_hi:[0,0,1]
	v_pk_fma_f32 v[6:7], v[6:7], 2.0, v[24:25] op_sel_hi:[1,0,1] neg_lo:[0,0,1] neg_hi:[0,0,1]
	v_pk_add_f32 v[8:9], v[4:5], v[36:37] neg_lo:[0,1] neg_hi:[0,1]
	v_pk_add_f32 v[14:15], v[30:31], v[14:15] neg_lo:[0,1] neg_hi:[0,1]
	v_mov_b32_e32 v29, v27
	v_pk_fma_f32 v[4:5], v[4:5], 2.0, v[8:9] op_sel_hi:[1,0,1] neg_lo:[0,0,1] neg_hi:[0,0,1]
	v_pk_fma_f32 v[26:27], v[30:31], 2.0, v[14:15] op_sel_hi:[1,0,1] neg_lo:[0,0,1] neg_hi:[0,0,1]
	s_barrier
	ds_write2st64_b64 v50, v[2:3], v[6:7] offset1:6
	ds_write2st64_b64 v50, v[20:21], v[24:25] offset0:12 offset1:18
	v_pk_add_f32 v[2:3], v[8:9], v[14:15] op_sel:[0,1] op_sel_hi:[1,0]
	v_pk_add_f32 v[6:7], v[8:9], v[14:15] op_sel:[0,1] op_sel_hi:[1,0] neg_lo:[0,1] neg_hi:[0,1]
	v_pk_add_f32 v[26:27], v[4:5], v[26:27] neg_lo:[0,1] neg_hi:[0,1]
	v_mov_b32_e32 v3, v7
	v_pk_add_f32 v[12:13], v[28:29], v[12:13] neg_lo:[0,1] neg_hi:[0,1]
	v_pk_fma_f32 v[4:5], v[4:5], 2.0, v[26:27] op_sel_hi:[1,0,1] neg_lo:[0,0,1] neg_hi:[0,0,1]
	v_pk_fma_f32 v[6:7], v[8:9], 2.0, v[2:3] op_sel_hi:[1,0,1] neg_lo:[0,0,1] neg_hi:[0,0,1]
	;; [unrolled: 1-line block ×3, first 2 shown]
	ds_write2st64_b64 v41, v[4:5], v[6:7] offset1:6
	ds_write2st64_b64 v41, v[26:27], v[2:3] offset0:12 offset1:18
	v_pk_add_f32 v[4:5], v[10:11], v[12:13] op_sel:[0,1] op_sel_hi:[1,0]
	v_pk_add_f32 v[6:7], v[10:11], v[12:13] op_sel:[0,1] op_sel_hi:[1,0] neg_lo:[0,1] neg_hi:[0,1]
	v_pk_add_f32 v[18:19], v[22:23], v[18:19] neg_lo:[0,1] neg_hi:[0,1]
	v_mov_b32_e32 v5, v7
	v_pk_fma_f32 v[2:3], v[22:23], 2.0, v[18:19] op_sel_hi:[1,0,1] neg_lo:[0,0,1] neg_hi:[0,0,1]
	v_pk_fma_f32 v[6:7], v[10:11], 2.0, v[4:5] op_sel_hi:[1,0,1] neg_lo:[0,0,1] neg_hi:[0,0,1]
	ds_write2st64_b64 v50, v[2:3], v[6:7] offset0:26 offset1:32
	ds_write2st64_b64 v50, v[18:19], v[4:5] offset0:38 offset1:44
	s_waitcnt lgkmcnt(0)
	s_barrier
	ds_read2st64_b64 v[2:5], v50 offset0:24 offset1:28
	ds_read2st64_b64 v[6:9], v50 offset1:4
	v_mov_b32_e32 v16, s0
	v_mov_b32_e32 v17, s1
	v_mad_u64_u32 v[10:11], s[0:1], s6, v68, 0
	s_waitcnt lgkmcnt(1)
	v_pk_mul_f32 v[12:13], v[126:127], v[2:3] op_sel:[1,0]
	s_nop 0
	v_pk_fma_f32 v[14:15], v[126:127], v[2:3], v[12:13] op_sel:[0,0,1] op_sel_hi:[1,1,0]
	v_pk_fma_f32 v[2:3], v[126:127], v[2:3], v[12:13] op_sel:[0,0,1] op_sel_hi:[0,1,0] neg_lo:[0,0,1] neg_hi:[0,0,1]
	v_mov_b32_e32 v15, v3
	v_pk_mul_f32 v[2:3], v[128:129], v[4:5] op_sel:[1,0]
	s_waitcnt lgkmcnt(0)
	v_pk_add_f32 v[12:13], v[6:7], v[14:15] neg_lo:[0,1] neg_hi:[0,1]
	v_pk_fma_f32 v[14:15], v[128:129], v[4:5], v[2:3] op_sel:[0,0,1] op_sel_hi:[1,1,0]
	v_pk_fma_f32 v[2:3], v[128:129], v[4:5], v[2:3] op_sel:[0,0,1] op_sel_hi:[0,1,0] neg_lo:[0,0,1] neg_hi:[0,0,1]
	v_mov_b32_e32 v15, v3
	v_pk_add_f32 v[14:15], v[8:9], v[14:15] neg_lo:[0,1] neg_hi:[0,1]
	ds_read2st64_b64 v[2:5], v50 offset0:32 offset1:36
	v_pk_fma_f32 v[6:7], v[6:7], 2.0, v[12:13] op_sel_hi:[1,0,1] neg_lo:[0,0,1] neg_hi:[0,0,1]
	v_pk_fma_f32 v[8:9], v[8:9], 2.0, v[14:15] op_sel_hi:[1,0,1] neg_lo:[0,0,1] neg_hi:[0,0,1]
	ds_write2st64_b64 v50, v[6:7], v[8:9] offset1:4
	ds_write2st64_b64 v50, v[12:13], v[14:15] offset0:24 offset1:28
	ds_read2st64_b64 v[6:9], v50 offset0:8 offset1:12
	s_waitcnt lgkmcnt(3)
	v_pk_mul_f32 v[12:13], v[130:131], v[2:3] op_sel:[1,0]
	s_nop 0
	v_pk_fma_f32 v[14:15], v[130:131], v[2:3], v[12:13] op_sel:[0,0,1] op_sel_hi:[1,1,0]
	v_pk_fma_f32 v[2:3], v[130:131], v[2:3], v[12:13] op_sel:[0,0,1] op_sel_hi:[0,1,0] neg_lo:[0,0,1] neg_hi:[0,0,1]
	v_mov_b32_e32 v15, v3
	v_pk_mul_f32 v[2:3], v[132:133], v[4:5] op_sel:[1,0]
	s_waitcnt lgkmcnt(0)
	v_pk_add_f32 v[12:13], v[6:7], v[14:15] neg_lo:[0,1] neg_hi:[0,1]
	v_pk_fma_f32 v[14:15], v[132:133], v[4:5], v[2:3] op_sel:[0,0,1] op_sel_hi:[1,1,0]
	v_pk_fma_f32 v[2:3], v[132:133], v[4:5], v[2:3] op_sel:[0,0,1] op_sel_hi:[0,1,0] neg_lo:[0,0,1] neg_hi:[0,0,1]
	v_mov_b32_e32 v15, v3
	v_pk_add_f32 v[14:15], v[8:9], v[14:15] neg_lo:[0,1] neg_hi:[0,1]
	ds_read2st64_b64 v[2:5], v50 offset0:40 offset1:44
	v_pk_fma_f32 v[6:7], v[6:7], 2.0, v[12:13] op_sel_hi:[1,0,1] neg_lo:[0,0,1] neg_hi:[0,0,1]
	v_pk_fma_f32 v[8:9], v[8:9], 2.0, v[14:15] op_sel_hi:[1,0,1] neg_lo:[0,0,1] neg_hi:[0,0,1]
	ds_write2st64_b64 v50, v[6:7], v[8:9] offset0:8 offset1:12
	ds_write2st64_b64 v50, v[12:13], v[14:15] offset0:32 offset1:36
	ds_read2st64_b64 v[6:9], v50 offset0:16 offset1:20
	s_waitcnt lgkmcnt(3)
	v_pk_mul_f32 v[12:13], v[136:137], v[2:3] op_sel:[1,0]
	s_nop 0
	v_pk_fma_f32 v[14:15], v[136:137], v[2:3], v[12:13] op_sel:[0,0,1] op_sel_hi:[1,1,0]
	v_pk_fma_f32 v[2:3], v[136:137], v[2:3], v[12:13] op_sel:[0,0,1] op_sel_hi:[0,1,0] neg_lo:[0,0,1] neg_hi:[0,0,1]
	v_mov_b32_e32 v15, v3
	v_pk_mul_f32 v[12:13], v[134:135], v[4:5] op_sel:[1,0]
	s_waitcnt lgkmcnt(0)
	v_pk_add_f32 v[2:3], v[6:7], v[14:15] neg_lo:[0,1] neg_hi:[0,1]
	v_pk_fma_f32 v[14:15], v[134:135], v[4:5], v[12:13] op_sel:[0,0,1] op_sel_hi:[1,1,0]
	v_pk_fma_f32 v[4:5], v[134:135], v[4:5], v[12:13] op_sel:[0,0,1] op_sel_hi:[0,1,0] neg_lo:[0,0,1] neg_hi:[0,0,1]
	v_mov_b32_e32 v15, v5
	v_pk_add_f32 v[4:5], v[8:9], v[14:15] neg_lo:[0,1] neg_hi:[0,1]
	v_pk_fma_f32 v[6:7], v[6:7], 2.0, v[2:3] op_sel_hi:[1,0,1] neg_lo:[0,0,1] neg_hi:[0,0,1]
	v_pk_fma_f32 v[8:9], v[8:9], 2.0, v[4:5] op_sel_hi:[1,0,1] neg_lo:[0,0,1] neg_hi:[0,0,1]
	ds_write2st64_b64 v50, v[6:7], v[8:9] offset0:16 offset1:20
	ds_write2st64_b64 v50, v[2:3], v[4:5] offset0:40 offset1:44
	s_waitcnt lgkmcnt(0)
	s_barrier
	ds_read2st64_b64 v[2:5], v50 offset1:4
	v_mov_b32_e32 v6, v11
	v_mad_u64_u32 v[6:7], s[0:1], s7, v68, v[6:7]
	v_mov_b32_e32 v11, v6
	s_waitcnt lgkmcnt(0)
	v_mul_f32_e32 v6, v77, v3
	v_fmac_f32_e32 v6, v76, v2
	v_mul_f32_e32 v2, v77, v2
	s_mov_b32 s0, 0x55555555
	v_fma_f32 v2, v76, v3, -v2
	s_mov_b32 s1, 0x3f355555
	v_cvt_f64_f32_e32 v[2:3], v2
	v_cvt_f64_f32_e32 v[6:7], v6
	v_mul_f64 v[2:3], v[2:3], s[0:1]
	v_mul_f64 v[6:7], v[6:7], s[0:1]
	v_cvt_f32_f64_e32 v13, v[2:3]
	v_mad_u64_u32 v[2:3], s[2:3], s4, v0, 0
	v_cvt_f32_f64_e32 v12, v[6:7]
	v_mov_b32_e32 v6, v3
	v_mad_u64_u32 v[14:15], s[2:3], s5, v0, v[6:7]
	ds_read2st64_b64 v[6:9], v50 offset0:8 offset1:12
	v_mov_b32_e32 v3, v14
	v_lshl_add_u64 v[10:11], v[10:11], 3, v[16:17]
	v_lshl_add_u64 v[2:3], v[2:3], 3, v[10:11]
	global_store_dwordx2 v[2:3], v[12:13], off
	s_waitcnt lgkmcnt(0)
	v_mul_f32_e32 v0, v75, v7
	v_fmac_f32_e32 v0, v74, v6
	v_cvt_f64_f32_e32 v[10:11], v0
	v_mul_f64 v[10:11], v[10:11], s[0:1]
	v_cvt_f32_f64_e32 v14, v[10:11]
	v_mul_f32_e32 v0, v75, v6
	ds_read2st64_b64 v[10:13], v50 offset0:16 offset1:20
	v_fma_f32 v0, v74, v7, -v0
	v_cvt_f64_f32_e32 v[6:7], v0
	v_mul_f64 v[6:7], v[6:7], s[0:1]
	s_lshl_b64 s[2:3], s[4:5], 12
	v_cvt_f32_f64_e32 v15, v[6:7]
	v_lshl_add_u64 v[2:3], v[2:3], 0, s[2:3]
	global_store_dwordx2 v[2:3], v[14:15], off
	s_waitcnt lgkmcnt(0)
	v_mul_f32_e32 v0, v73, v11
	ds_read2st64_b64 v[14:17], v50 offset0:24 offset1:28
	v_fmac_f32_e32 v0, v72, v10
	v_cvt_f64_f32_e32 v[6:7], v0
	v_mul_f32_e32 v0, v73, v10
	v_fma_f32 v0, v72, v11, -v0
	v_cvt_f64_f32_e32 v[10:11], v0
	v_mul_f64 v[6:7], v[6:7], s[0:1]
	v_mul_f64 v[10:11], v[10:11], s[0:1]
	s_waitcnt lgkmcnt(0)
	v_mul_f32_e32 v0, v71, v15
	ds_read2st64_b64 v[18:21], v50 offset0:32 offset1:36
	v_cvt_f32_f64_e32 v6, v[6:7]
	v_cvt_f32_f64_e32 v7, v[10:11]
	v_lshl_add_u64 v[2:3], v[2:3], 0, s[2:3]
	v_fmac_f32_e32 v0, v70, v14
	global_store_dwordx2 v[2:3], v[6:7], off
	v_cvt_f64_f32_e32 v[6:7], v0
	v_mul_f32_e32 v0, v71, v14
	v_fma_f32 v0, v70, v15, -v0
	v_cvt_f64_f32_e32 v[10:11], v0
	v_mul_f64 v[6:7], v[6:7], s[0:1]
	v_mul_f64 v[10:11], v[10:11], s[0:1]
	s_waitcnt lgkmcnt(0)
	v_mul_f32_e32 v0, v67, v19
	ds_read2st64_b64 v[22:25], v50 offset0:40 offset1:44
	v_cvt_f32_f64_e32 v6, v[6:7]
	v_cvt_f32_f64_e32 v7, v[10:11]
	v_lshl_add_u64 v[2:3], v[2:3], 0, s[2:3]
	v_fmac_f32_e32 v0, v66, v18
	global_store_dwordx2 v[2:3], v[6:7], off
	v_cvt_f64_f32_e32 v[6:7], v0
	v_mul_f32_e32 v0, v67, v18
	v_fma_f32 v0, v66, v19, -v0
	v_cvt_f64_f32_e32 v[10:11], v0
	v_mul_f64 v[6:7], v[6:7], s[0:1]
	v_mul_f64 v[10:11], v[10:11], s[0:1]
	s_waitcnt lgkmcnt(0)
	v_mul_f32_e32 v0, v63, v23
	v_cvt_f32_f64_e32 v6, v[6:7]
	v_cvt_f32_f64_e32 v7, v[10:11]
	v_lshl_add_u64 v[2:3], v[2:3], 0, s[2:3]
	v_fmac_f32_e32 v0, v62, v22
	global_store_dwordx2 v[2:3], v[6:7], off
	v_cvt_f64_f32_e32 v[6:7], v0
	v_mul_f32_e32 v0, v63, v22
	v_fma_f32 v0, v62, v23, -v0
	v_cvt_f64_f32_e32 v[10:11], v0
	v_mul_f64 v[6:7], v[6:7], s[0:1]
	v_mul_f64 v[10:11], v[10:11], s[0:1]
	v_mul_f32_e32 v0, v65, v5
	v_cvt_f32_f64_e32 v6, v[6:7]
	v_cvt_f32_f64_e32 v7, v[10:11]
	v_lshl_add_u64 v[2:3], v[2:3], 0, s[2:3]
	v_fmac_f32_e32 v0, v64, v4
	global_store_dwordx2 v[2:3], v[6:7], off
	v_cvt_f64_f32_e32 v[6:7], v0
	v_mul_f32_e32 v0, v65, v4
	v_fma_f32 v0, v64, v5, -v0
	v_cvt_f64_f32_e32 v[4:5], v0
	v_mad_u64_u32 v[0:1], s[6:7], s4, v1, v[2:3]
	v_mul_f32_e32 v2, v61, v9
	v_fmac_f32_e32 v2, v60, v8
	v_cvt_f64_f32_e32 v[2:3], v2
	v_mul_f64 v[2:3], v[2:3], s[0:1]
	v_cvt_f32_f64_e32 v2, v[2:3]
	v_mul_f32_e32 v3, v61, v8
	v_mul_f64 v[6:7], v[6:7], s[0:1]
	v_mul_f64 v[4:5], v[4:5], s[0:1]
	s_mulk_i32 s5, 0xb800
	v_fma_f32 v3, v60, v9, -v3
	v_cvt_f32_f64_e32 v6, v[6:7]
	v_cvt_f32_f64_e32 v7, v[4:5]
	s_sub_i32 s4, s5, s4
	v_cvt_f64_f32_e32 v[4:5], v3
	v_add_u32_e32 v1, s4, v1
	v_mul_f64 v[4:5], v[4:5], s[0:1]
	global_store_dwordx2 v[0:1], v[6:7], off
	v_cvt_f32_f64_e32 v3, v[4:5]
	v_lshl_add_u64 v[0:1], v[0:1], 0, s[2:3]
	global_store_dwordx2 v[0:1], v[2:3], off
	v_mul_f32_e32 v2, v59, v13
	v_fmac_f32_e32 v2, v58, v12
	v_cvt_f64_f32_e32 v[2:3], v2
	v_mul_f64 v[2:3], v[2:3], s[0:1]
	v_cvt_f32_f64_e32 v2, v[2:3]
	v_mul_f32_e32 v3, v59, v12
	v_fma_f32 v3, v58, v13, -v3
	v_cvt_f64_f32_e32 v[4:5], v3
	v_mul_f64 v[4:5], v[4:5], s[0:1]
	v_cvt_f32_f64_e32 v3, v[4:5]
	v_lshl_add_u64 v[0:1], v[0:1], 0, s[2:3]
	global_store_dwordx2 v[0:1], v[2:3], off
	v_mul_f32_e32 v2, v57, v17
	v_fmac_f32_e32 v2, v56, v16
	v_cvt_f64_f32_e32 v[2:3], v2
	v_mul_f64 v[2:3], v[2:3], s[0:1]
	v_cvt_f32_f64_e32 v2, v[2:3]
	v_mul_f32_e32 v3, v57, v16
	v_fma_f32 v3, v56, v17, -v3
	v_cvt_f64_f32_e32 v[4:5], v3
	v_mul_f64 v[4:5], v[4:5], s[0:1]
	;; [unrolled: 12-line block ×4, first 2 shown]
	v_cvt_f32_f64_e32 v3, v[4:5]
	v_lshl_add_u64 v[0:1], v[0:1], 0, s[2:3]
	global_store_dwordx2 v[0:1], v[2:3], off
.LBB0_2:
	s_endpgm
	.section	.rodata,"a",@progbits
	.p2align	6, 0x0
	.amdhsa_kernel bluestein_single_fwd_len3072_dim1_sp_op_CI_CI
		.amdhsa_group_segment_fixed_size 24576
		.amdhsa_private_segment_fixed_size 0
		.amdhsa_kernarg_size 104
		.amdhsa_user_sgpr_count 2
		.amdhsa_user_sgpr_dispatch_ptr 0
		.amdhsa_user_sgpr_queue_ptr 0
		.amdhsa_user_sgpr_kernarg_segment_ptr 1
		.amdhsa_user_sgpr_dispatch_id 0
		.amdhsa_user_sgpr_kernarg_preload_length 0
		.amdhsa_user_sgpr_kernarg_preload_offset 0
		.amdhsa_user_sgpr_private_segment_size 0
		.amdhsa_uses_dynamic_stack 0
		.amdhsa_enable_private_segment 0
		.amdhsa_system_sgpr_workgroup_id_x 1
		.amdhsa_system_sgpr_workgroup_id_y 0
		.amdhsa_system_sgpr_workgroup_id_z 0
		.amdhsa_system_sgpr_workgroup_info 0
		.amdhsa_system_vgpr_workitem_id 0
		.amdhsa_next_free_vgpr 188
		.amdhsa_next_free_sgpr 20
		.amdhsa_accum_offset 188
		.amdhsa_reserve_vcc 1
		.amdhsa_float_round_mode_32 0
		.amdhsa_float_round_mode_16_64 0
		.amdhsa_float_denorm_mode_32 3
		.amdhsa_float_denorm_mode_16_64 3
		.amdhsa_dx10_clamp 1
		.amdhsa_ieee_mode 1
		.amdhsa_fp16_overflow 0
		.amdhsa_tg_split 0
		.amdhsa_exception_fp_ieee_invalid_op 0
		.amdhsa_exception_fp_denorm_src 0
		.amdhsa_exception_fp_ieee_div_zero 0
		.amdhsa_exception_fp_ieee_overflow 0
		.amdhsa_exception_fp_ieee_underflow 0
		.amdhsa_exception_fp_ieee_inexact 0
		.amdhsa_exception_int_div_zero 0
	.end_amdhsa_kernel
	.text
.Lfunc_end0:
	.size	bluestein_single_fwd_len3072_dim1_sp_op_CI_CI, .Lfunc_end0-bluestein_single_fwd_len3072_dim1_sp_op_CI_CI
                                        ; -- End function
	.section	.AMDGPU.csdata,"",@progbits
; Kernel info:
; codeLenInByte = 10536
; NumSgprs: 26
; NumVgprs: 188
; NumAgprs: 0
; TotalNumVgprs: 188
; ScratchSize: 0
; MemoryBound: 0
; FloatMode: 240
; IeeeMode: 1
; LDSByteSize: 24576 bytes/workgroup (compile time only)
; SGPRBlocks: 3
; VGPRBlocks: 23
; NumSGPRsForWavesPerEU: 26
; NumVGPRsForWavesPerEU: 188
; AccumOffset: 188
; Occupancy: 2
; WaveLimiterHint : 1
; COMPUTE_PGM_RSRC2:SCRATCH_EN: 0
; COMPUTE_PGM_RSRC2:USER_SGPR: 2
; COMPUTE_PGM_RSRC2:TRAP_HANDLER: 0
; COMPUTE_PGM_RSRC2:TGID_X_EN: 1
; COMPUTE_PGM_RSRC2:TGID_Y_EN: 0
; COMPUTE_PGM_RSRC2:TGID_Z_EN: 0
; COMPUTE_PGM_RSRC2:TIDIG_COMP_CNT: 0
; COMPUTE_PGM_RSRC3_GFX90A:ACCUM_OFFSET: 46
; COMPUTE_PGM_RSRC3_GFX90A:TG_SPLIT: 0
	.text
	.p2alignl 6, 3212836864
	.fill 256, 4, 3212836864
	.type	__hip_cuid_1a43bc1248cac27e,@object ; @__hip_cuid_1a43bc1248cac27e
	.section	.bss,"aw",@nobits
	.globl	__hip_cuid_1a43bc1248cac27e
__hip_cuid_1a43bc1248cac27e:
	.byte	0                               ; 0x0
	.size	__hip_cuid_1a43bc1248cac27e, 1

	.ident	"AMD clang version 19.0.0git (https://github.com/RadeonOpenCompute/llvm-project roc-6.4.0 25133 c7fe45cf4b819c5991fe208aaa96edf142730f1d)"
	.section	".note.GNU-stack","",@progbits
	.addrsig
	.addrsig_sym __hip_cuid_1a43bc1248cac27e
	.amdgpu_metadata
---
amdhsa.kernels:
  - .agpr_count:     0
    .args:
      - .actual_access:  read_only
        .address_space:  global
        .offset:         0
        .size:           8
        .value_kind:     global_buffer
      - .actual_access:  read_only
        .address_space:  global
        .offset:         8
        .size:           8
        .value_kind:     global_buffer
      - .actual_access:  read_only
        .address_space:  global
        .offset:         16
        .size:           8
        .value_kind:     global_buffer
      - .actual_access:  read_only
        .address_space:  global
        .offset:         24
        .size:           8
        .value_kind:     global_buffer
      - .actual_access:  read_only
        .address_space:  global
        .offset:         32
        .size:           8
        .value_kind:     global_buffer
      - .offset:         40
        .size:           8
        .value_kind:     by_value
      - .address_space:  global
        .offset:         48
        .size:           8
        .value_kind:     global_buffer
      - .address_space:  global
        .offset:         56
        .size:           8
        .value_kind:     global_buffer
      - .address_space:  global
        .offset:         64
        .size:           8
        .value_kind:     global_buffer
      - .address_space:  global
        .offset:         72
        .size:           8
        .value_kind:     global_buffer
      - .offset:         80
        .size:           4
        .value_kind:     by_value
      - .address_space:  global
        .offset:         88
        .size:           8
        .value_kind:     global_buffer
      - .address_space:  global
        .offset:         96
        .size:           8
        .value_kind:     global_buffer
    .group_segment_fixed_size: 24576
    .kernarg_segment_align: 8
    .kernarg_segment_size: 104
    .language:       OpenCL C
    .language_version:
      - 2
      - 0
    .max_flat_workgroup_size: 256
    .name:           bluestein_single_fwd_len3072_dim1_sp_op_CI_CI
    .private_segment_fixed_size: 0
    .sgpr_count:     26
    .sgpr_spill_count: 0
    .symbol:         bluestein_single_fwd_len3072_dim1_sp_op_CI_CI.kd
    .uniform_work_group_size: 1
    .uses_dynamic_stack: false
    .vgpr_count:     188
    .vgpr_spill_count: 0
    .wavefront_size: 64
amdhsa.target:   amdgcn-amd-amdhsa--gfx950
amdhsa.version:
  - 1
  - 2
...

	.end_amdgpu_metadata
